;; amdgpu-corpus repo=LLNL/RAJAPerf kind=compiled arch=gfx1100 opt=O3
	.text
	.amdgcn_target "amdgcn-amd-amdhsa--gfx1100"
	.amdhsa_code_object_version 6
	.section	.text._ZN8rajaperf4apps6edge3dILm256EEEvPdS2_S2_S2_S2_S2_S2_S2_S2_S2_S2_S2_S2_S2_S2_S2_S2_S2_S2_S2_S2_S2_S2_S2_S2_ll,"axG",@progbits,_ZN8rajaperf4apps6edge3dILm256EEEvPdS2_S2_S2_S2_S2_S2_S2_S2_S2_S2_S2_S2_S2_S2_S2_S2_S2_S2_S2_S2_S2_S2_S2_S2_ll,comdat
	.protected	_ZN8rajaperf4apps6edge3dILm256EEEvPdS2_S2_S2_S2_S2_S2_S2_S2_S2_S2_S2_S2_S2_S2_S2_S2_S2_S2_S2_S2_S2_S2_S2_S2_ll ; -- Begin function _ZN8rajaperf4apps6edge3dILm256EEEvPdS2_S2_S2_S2_S2_S2_S2_S2_S2_S2_S2_S2_S2_S2_S2_S2_S2_S2_S2_S2_S2_S2_S2_S2_ll
	.globl	_ZN8rajaperf4apps6edge3dILm256EEEvPdS2_S2_S2_S2_S2_S2_S2_S2_S2_S2_S2_S2_S2_S2_S2_S2_S2_S2_S2_S2_S2_S2_S2_S2_ll
	.p2align	8
	.type	_ZN8rajaperf4apps6edge3dILm256EEEvPdS2_S2_S2_S2_S2_S2_S2_S2_S2_S2_S2_S2_S2_S2_S2_S2_S2_S2_S2_S2_S2_S2_S2_S2_ll,@function
_ZN8rajaperf4apps6edge3dILm256EEEvPdS2_S2_S2_S2_S2_S2_S2_S2_S2_S2_S2_S2_S2_S2_S2_S2_S2_S2_S2_S2_S2_S2_S2_S2_ll: ; @_ZN8rajaperf4apps6edge3dILm256EEEvPdS2_S2_S2_S2_S2_S2_S2_S2_S2_S2_S2_S2_S2_S2_S2_S2_S2_S2_S2_S2_S2_S2_S2_S2_ll
; %bb.0:
	s_clause 0x1
	s_load_b128 s[24:27], s[0:1], 0xc0
	s_load_b64 s[2:3], s[0:1], 0xd0
	s_mov_b32 s20, s15
	s_mov_b32 s21, 0
	s_delay_alu instid0(SALU_CYCLE_1) | instskip(SKIP_4) | instid1(VALU_DEP_1)
	s_lshl_b64 s[4:5], s[20:21], 8
	s_waitcnt lgkmcnt(0)
	s_add_u32 s4, s26, s4
	s_addc_u32 s5, s27, s5
	v_add_co_u32 v0, s4, s4, v0
	v_add_co_ci_u32_e64 v1, null, s5, 0, s4
	s_delay_alu instid0(VALU_DEP_1)
	v_cmp_gt_i64_e32 vcc_lo, s[2:3], v[0:1]
	s_and_saveexec_b32 s2, vcc_lo
	s_cbranch_execz .LBB0_10
; %bb.1:
	s_load_b512 s[4:19], s[0:1], 0x0
	v_lshlrev_b64 v[22:23], 3, v[0:1]
	s_clause 0x1
	s_load_b512 s[52:67], s[0:1], 0x40
	s_load_b512 s[36:51], s[0:1], 0x80
	s_mov_b32 s20, s21
	s_mov_b32 s22, s21
	;; [unrolled: 1-line block ×3, first 2 shown]
	v_dual_mov_b32 v95, s21 :: v_dual_mov_b32 v94, s20
	s_mov_b32 s2, 0x4ad4b81f
	s_mov_b32 s3, 0x358dee7a
	s_mov_b32 s0, -1
	s_mov_b32 s1, 0x3fe93cd3
	s_waitcnt lgkmcnt(0)
	v_add_co_u32 v0, vcc_lo, s6, v22
	v_add_co_ci_u32_e32 v1, vcc_lo, s7, v23, vcc_lo
	v_add_co_u32 v2, vcc_lo, s8, v22
	v_add_co_ci_u32_e32 v3, vcc_lo, s9, v23, vcc_lo
	;; [unrolled: 2-line block ×4, first 2 shown]
	global_load_b64 v[8:9], v[0:1], off
	global_load_b64 v[10:11], v[2:3], off
	global_load_b64 v[4:5], v[4:5], off
	global_load_b64 v[6:7], v[6:7], off
	v_add_co_u32 v0, vcc_lo, s14, v22
	v_add_co_ci_u32_e32 v1, vcc_lo, s15, v23, vcc_lo
	v_add_co_u32 v2, vcc_lo, s16, v22
	v_add_co_ci_u32_e32 v3, vcc_lo, s17, v23, vcc_lo
	v_add_co_u32 v12, vcc_lo, s18, v22
	v_add_co_ci_u32_e32 v13, vcc_lo, s19, v23, vcc_lo
	v_add_co_u32 v14, vcc_lo, s52, v22
	v_add_co_ci_u32_e32 v15, vcc_lo, s53, v23, vcc_lo
	v_add_co_u32 v16, vcc_lo, s54, v22
	v_add_co_ci_u32_e32 v17, vcc_lo, s55, v23, vcc_lo
	global_load_b64 v[54:55], v[0:1], off
	global_load_b64 v[58:59], v[2:3], off
	global_load_b64 v[12:13], v[12:13], off
	global_load_b64 v[14:15], v[14:15], off
	global_load_b64 v[62:63], v[16:17], off
	v_add_co_u32 v0, vcc_lo, s56, v22
	v_add_co_ci_u32_e32 v1, vcc_lo, s57, v23, vcc_lo
	v_add_co_u32 v2, vcc_lo, s58, v22
	v_add_co_ci_u32_e32 v3, vcc_lo, s59, v23, vcc_lo
	v_add_co_u32 v16, vcc_lo, s60, v22
	v_add_co_ci_u32_e32 v17, vcc_lo, s61, v23, vcc_lo
	v_add_co_u32 v18, vcc_lo, s62, v22
	v_add_co_ci_u32_e32 v19, vcc_lo, s63, v23, vcc_lo
	v_add_co_u32 v20, vcc_lo, s64, v22
	v_add_co_ci_u32_e32 v21, vcc_lo, s65, v23, vcc_lo
	global_load_b64 v[66:67], v[0:1], off
	;; [unrolled: 15-line block ×3, first 2 shown]
	global_load_b64 v[76:77], v[2:3], off
	global_load_b64 v[78:79], v[16:17], off
	global_load_b64 v[80:81], v[18:19], off
	global_load_b64 v[82:83], v[20:21], off
	v_add_co_u32 v0, vcc_lo, s46, v22
	v_add_co_ci_u32_e32 v1, vcc_lo, s47, v23, vcc_lo
	v_add_co_u32 v2, vcc_lo, s48, v22
	v_add_co_ci_u32_e32 v3, vcc_lo, s49, v23, vcc_lo
	;; [unrolled: 2-line block ×4, first 2 shown]
	v_add_co_u32 v20, vcc_lo, s44, v22
	scratch_store_b64 off, v[22:23], off offset:1176 ; 8-byte Folded Spill
	v_add_co_ci_u32_e32 v21, vcc_lo, s45, v23, vcc_lo
	global_load_b64 v[84:85], v[0:1], off
	global_load_b64 v[86:87], v[2:3], off
	;; [unrolled: 1-line block ×5, first 2 shown]
	v_dual_mov_b32 v0, s20 :: v_dual_mov_b32 v1, s21
	v_dual_mov_b32 v2, s22 :: v_dual_mov_b32 v3, s23
	s_clause 0x9
	scratch_store_b128 off, v[0:3], off
	scratch_store_b128 off, v[0:3], off offset:16
	scratch_store_b128 off, v[0:3], off offset:32
	scratch_store_b128 off, v[0:3], off offset:48
	scratch_store_b128 off, v[0:3], off offset:64
	scratch_store_b128 off, v[0:3], off offset:80
	scratch_store_b128 off, v[0:3], off offset:104
	scratch_store_b128 off, v[0:3], off offset:120
	scratch_store_b128 off, v[0:3], off offset:136
	scratch_store_b128 off, v[0:3], off offset:152
	s_mov_b32 s12, 0xa2c8198e
	s_waitcnt vmcnt(22)
	v_add_f64 v[34:35], v[10:11], -v[8:9]
	s_waitcnt vmcnt(21)
	v_add_f64 v[50:51], v[4:5], -v[10:11]
	;; [unrolled: 2-line block ×3, first 2 shown]
	v_add_f64 v[46:47], v[6:7], -v[8:9]
	s_waitcnt vmcnt(19)
	v_add_f64 v[16:17], v[54:55], -v[8:9]
	s_waitcnt vmcnt(18)
	;; [unrolled: 2-line block ×3, first 2 shown]
	v_add_f64 v[40:41], v[12:13], -v[14:15]
	v_add_f64 v[54:55], v[14:15], -v[54:55]
	s_waitcnt vmcnt(14)
	v_add_f64 v[42:43], v[66:67], -v[62:63]
	s_waitcnt vmcnt(12)
	;; [unrolled: 2-line block ×4, first 2 shown]
	v_add_f64 v[20:21], v[72:73], -v[66:67]
	v_add_f64 v[48:49], v[72:73], -v[70:71]
	;; [unrolled: 1-line block ×4, first 2 shown]
	scratch_store_b64 off, v[16:17], off offset:1152 ; 8-byte Folded Spill
	v_add_f64 v[16:17], v[58:59], -v[10:11]
	v_add_f64 v[58:59], v[12:13], -v[58:59]
	s_waitcnt vmcnt(9)
	v_add_f64 v[22:23], v[74:75], -v[68:69]
	s_waitcnt vmcnt(8)
	v_add_f64 v[24:25], v[76:77], -v[64:65]
	v_add_f64 v[52:53], v[74:75], -v[76:77]
	s_waitcnt vmcnt(6)
	v_add_f64 v[56:57], v[80:81], -v[78:79]
	v_add_f64 v[70:71], v[76:77], -v[70:71]
	;; [unrolled: 1-line block ×3, first 2 shown]
	s_waitcnt vmcnt(5)
	v_add_f64 v[76:77], v[82:83], -v[80:81]
	s_waitcnt vmcnt(4)
	v_add_f64 v[26:27], v[84:85], -v[78:79]
	;; [unrolled: 2-line block ×4, first 2 shown]
	v_add_f64 v[64:65], v[86:87], -v[84:85]
	s_waitcnt vmcnt(0)
	v_add_f64 v[32:33], v[90:91], -v[92:93]
	v_add_f64 v[60:61], v[82:83], -v[92:93]
	;; [unrolled: 1-line block ×6, first 2 shown]
	scratch_store_b64 off, v[16:17], off offset:1160 ; 8-byte Folded Spill
	v_add_f64 v[16:17], v[12:13], -v[4:5]
	scratch_store_b64 off, v[16:17], off offset:1168 ; 8-byte Folded Spill
	v_add_f64 v[16:17], v[14:15], -v[6:7]
	s_clause 0x1f
	scratch_store_b128 off, v[0:3], off offset:168
	scratch_store_b64 off, v[94:95], off offset:184
	scratch_store_b128 off, v[0:3], off offset:208
	scratch_store_b128 off, v[0:3], off offset:224
	;; [unrolled: 1-line block ×9, first 2 shown]
	scratch_store_b64 off, v[94:95], off offset:376
	scratch_store_b128 off, v[0:3], off offset:416
	scratch_store_b128 off, v[0:3], off offset:432
	;; [unrolled: 1-line block ×7, first 2 shown]
	scratch_store_b64 off, v[94:95], off offset:568
	scratch_store_b128 off, v[0:3], off offset:624
	scratch_store_b128 off, v[0:3], off offset:640
	;; [unrolled: 1-line block ×5, first 2 shown]
	scratch_store_b64 off, v[94:95], off offset:760
	scratch_store_b128 off, v[0:3], off offset:832
	scratch_store_b128 off, v[0:3], off offset:848
	;; [unrolled: 1-line block ×3, first 2 shown]
	scratch_store_b64 off, v[94:95], off offset:952
	scratch_store_b128 off, v[0:3], off offset:1040
	scratch_store_b64 off, v[94:95], off offset:1144
.LBB0_2:                                ; =>This Loop Header: Depth=1
                                        ;     Child Loop BB0_3 Depth 2
                                        ;       Child Loop BB0_4 Depth 3
	s_xor_b32 s13, s0, -1
	s_cmp_eq_u32 s21, 1
	s_mov_b32 s0, 0
	s_cselect_b32 s7, s1, 0x3fcb0cb1
	s_cselect_b32 s6, s12, 0x74df99c7
	s_mov_b32 s8, -1
	v_add_f64 v[82:83], -s[6:7], 1.0
.LBB0_3:                                ;   Parent Loop BB0_2 Depth=1
                                        ; =>  This Loop Header: Depth=2
                                        ;       Child Loop BB0_4 Depth 3
	s_clause 0x1
	scratch_load_b64 v[0:1], off, off offset:1160
	scratch_load_b64 v[6:7], off, off offset:1152
	s_xor_b32 s14, s8, -1
	s_cmp_eq_u32 s0, 1
	s_mov_b32 s10, -1
	s_cselect_b32 s9, s1, 0x3fcb0cb1
	s_cselect_b32 s8, s12, 0x74df99c7
	s_mov_b32 s0, 0
	v_add_f64 v[84:85], -s[8:9], 1.0
	v_mul_f64 v[90:91], s[6:7], s[8:9]
	v_mul_f64 v[92:93], v[82:83], s[8:9]
	s_delay_alu instid0(VALU_DEP_3) | instskip(SKIP_1) | instid1(VALU_DEP_2)
	v_mul_f64 v[86:87], s[6:7], v[84:85]
	v_mul_f64 v[88:89], v[82:83], v[84:85]
	;; [unrolled: 1-line block ×4, first 2 shown]
	s_delay_alu instid0(VALU_DEP_2) | instskip(NEXT) | instid1(VALU_DEP_2)
	v_fma_f64 v[2:3], v[18:19], v[88:89], v[2:3]
	v_fma_f64 v[4:5], v[26:27], v[88:89], v[4:5]
	s_delay_alu instid0(VALU_DEP_2) | instskip(NEXT) | instid1(VALU_DEP_2)
	v_fma_f64 v[2:3], v[22:23], v[90:91], v[2:3]
	v_fma_f64 v[4:5], v[30:31], v[90:91], v[4:5]
	;; [unrolled: 3-line block ×3, first 2 shown]
	s_waitcnt vmcnt(1)
	v_mul_f64 v[0:1], v[0:1], v[86:87]
	s_waitcnt vmcnt(0)
	s_delay_alu instid0(VALU_DEP_1) | instskip(SKIP_3) | instid1(VALU_DEP_1)
	v_fma_f64 v[0:1], v[6:7], v[88:89], v[0:1]
	scratch_load_b64 v[6:7], off, off offset:1168 ; 8-byte Folded Reload
	s_waitcnt vmcnt(0)
	v_fma_f64 v[0:1], v[6:7], v[90:91], v[0:1]
	v_fma_f64 v[94:95], v[16:17], v[92:93], v[0:1]
.LBB0_4:                                ;   Parent Loop BB0_2 Depth=1
                                        ;     Parent Loop BB0_3 Depth=2
                                        ; =>    This Inner Loop Header: Depth=3
	s_cmp_eq_u32 s0, 1
	v_cndmask_b32_e64 v0, 0, 1, s10
	s_cselect_b32 s10, s12, 0x74df99c7
	s_cselect_b32 s11, s1, 0x3fcb0cb1
	s_delay_alu instid0(SALU_CYCLE_1) | instskip(NEXT) | instid1(VALU_DEP_2)
	v_add_f64 v[8:9], -s[10:11], 1.0
	v_cmp_ne_u32_e64 s0, 1, v0
	v_mul_f64 v[10:11], v[84:85], s[10:11]
	v_mul_f64 v[12:13], v[82:83], s[10:11]
	;; [unrolled: 1-line block ×8, first 2 shown]
	s_delay_alu instid0(VALU_DEP_4) | instskip(NEXT) | instid1(VALU_DEP_4)
	v_mul_f64 v[110:111], v[62:63], v[0:1]
	v_mul_f64 v[106:107], v[60:61], v[14:15]
	;; [unrolled: 1-line block ×6, first 2 shown]
	v_fma_f64 v[110:111], v[66:67], v[100:101], v[110:111]
	v_fma_f64 v[106:107], v[56:57], v[2:3], v[106:107]
	;; [unrolled: 1-line block ×18, first 2 shown]
	v_mul_f64 v[130:131], v[94:95], v[110:111]
	v_mul_f64 v[116:117], v[110:111], v[106:107]
	;; [unrolled: 1-line block ×6, first 2 shown]
	v_fma_f64 v[130:131], v[96:97], v[108:109], -v[130:131]
	v_mul_f64 v[118:119], v[94:95], v[116:117]
	v_fma_f64 v[116:117], v[104:105], v[112:113], -v[116:117]
	s_delay_alu instid0(VALU_DEP_4) | instskip(NEXT) | instid1(VALU_DEP_3)
	v_fma_f64 v[132:133], v[94:95], v[104:105], -v[132:133]
	v_fma_f64 v[114:115], v[94:95], v[114:115], -v[118:119]
	v_mul_f64 v[118:119], v[108:109], v[106:107]
	s_delay_alu instid0(VALU_DEP_1) | instskip(SKIP_1) | instid1(VALU_DEP_1)
	v_fma_f64 v[114:115], v[96:97], v[118:119], v[114:115]
	v_mul_f64 v[118:119], v[102:103], v[112:113]
	v_fma_f64 v[114:115], -v[96:97], v[118:119], v[114:115]
	v_fma_f64 v[118:119], v[108:109], v[106:107], -v[118:119]
	s_delay_alu instid0(VALU_DEP_2) | instskip(SKIP_1) | instid1(VALU_DEP_2)
	v_fma_f64 v[114:115], -v[98:99], v[120:121], v[114:115]
	v_fma_f64 v[120:121], v[102:103], v[110:111], -v[120:121]
	v_fma_f64 v[238:239], v[98:99], v[122:123], v[114:115]
	s_delay_alu instid0(VALU_DEP_1) | instskip(NEXT) | instid1(VALU_DEP_1)
	v_add_f64 v[114:115], v[238:239], s[2:3]
	v_div_scale_f64 v[122:123], null, v[114:115], v[114:115], 1.0
	s_delay_alu instid0(VALU_DEP_1) | instskip(SKIP_2) | instid1(VALU_DEP_1)
	v_rcp_f64_e32 v[124:125], v[122:123]
	s_waitcnt_depctr 0xfff
	v_fma_f64 v[126:127], -v[122:123], v[124:125], 1.0
	v_fma_f64 v[124:125], v[124:125], v[126:127], v[124:125]
	s_delay_alu instid0(VALU_DEP_1) | instskip(NEXT) | instid1(VALU_DEP_1)
	v_fma_f64 v[126:127], -v[122:123], v[124:125], 1.0
	v_fma_f64 v[124:125], v[124:125], v[126:127], v[124:125]
	v_div_scale_f64 v[126:127], vcc_lo, 1.0, v[114:115], 1.0
	s_delay_alu instid0(VALU_DEP_1) | instskip(NEXT) | instid1(VALU_DEP_1)
	v_mul_f64 v[128:129], v[126:127], v[124:125]
	v_fma_f64 v[122:123], -v[122:123], v[128:129], v[126:127]
	v_mul_f64 v[126:127], v[98:99], v[108:109]
	s_delay_alu instid0(VALU_DEP_2) | instskip(SKIP_2) | instid1(VALU_DEP_4)
	v_div_fmas_f64 v[122:123], v[122:123], v[124:125], v[128:129]
	v_mul_f64 v[124:125], v[98:99], v[104:105]
	v_mul_f64 v[128:129], v[94:95], v[106:107]
	v_fma_f64 v[126:127], v[94:95], v[112:113], -v[126:127]
	s_delay_alu instid0(VALU_DEP_4) | instskip(SKIP_3) | instid1(VALU_DEP_4)
	v_div_fixup_f64 v[114:115], v[122:123], v[114:115], 1.0
	v_mul_f64 v[122:123], v[96:97], v[112:113]
	v_fma_f64 v[124:125], v[96:97], v[106:107], -v[124:125]
	v_fma_f64 v[128:129], v[98:99], v[102:103], -v[128:129]
	v_mul_f64 v[116:117], v[116:117], v[114:115]
	s_delay_alu instid0(VALU_DEP_4) | instskip(NEXT) | instid1(VALU_DEP_4)
	v_fma_f64 v[122:123], v[98:99], v[110:111], -v[122:123]
	v_mul_f64 v[124:125], v[124:125], v[114:115]
	s_delay_alu instid0(VALU_DEP_4)
	v_mul_f64 v[128:129], v[128:129], v[114:115]
	v_mul_f64 v[126:127], v[126:127], v[114:115]
	;; [unrolled: 1-line block ×8, first 2 shown]
	v_add_f64 v[120:121], |v[238:239]|, s[2:3]
	s_delay_alu instid0(VALU_DEP_3) | instskip(NEXT) | instid1(VALU_DEP_1)
	v_fma_f64 v[136:137], v[2:3], v[122:123], v[134:135]
	v_fma_f64 v[232:233], v[116:117], 0, v[136:137]
	v_mul_f64 v[136:137], v[128:129], 0
	s_delay_alu instid0(VALU_DEP_1) | instskip(NEXT) | instid1(VALU_DEP_1)
	v_fma_f64 v[138:139], v[2:3], v[126:127], v[136:137]
	v_fma_f64 v[234:235], v[118:119], 0, v[138:139]
	v_mul_f64 v[138:139], v[132:133], 0
	s_delay_alu instid0(VALU_DEP_1) | instskip(NEXT) | instid1(VALU_DEP_1)
	v_fma_f64 v[2:3], v[2:3], v[130:131], v[138:139]
	v_fma_f64 v[236:237], v[114:115], 0, v[2:3]
	v_fma_f64 v[2:3], v[14:15], v[122:123], v[134:135]
	s_delay_alu instid0(VALU_DEP_1) | instskip(SKIP_1) | instid1(VALU_DEP_1)
	v_fma_f64 v[226:227], v[116:117], 0, v[2:3]
	v_fma_f64 v[2:3], v[14:15], v[126:127], v[136:137]
	v_fma_f64 v[228:229], v[118:119], 0, v[2:3]
	v_fma_f64 v[2:3], v[14:15], v[130:131], v[138:139]
	s_delay_alu instid0(VALU_DEP_1) | instskip(SKIP_1) | instid1(VALU_DEP_1)
	v_fma_f64 v[230:231], v[114:115], 0, v[2:3]
	;; [unrolled: 5-line block ×5, first 2 shown]
	v_mul_f64 v[2:3], v[122:123], 0
	v_fma_f64 v[6:7], v[0:1], v[124:125], v[2:3]
	s_delay_alu instid0(VALU_DEP_1) | instskip(SKIP_1) | instid1(VALU_DEP_1)
	v_fma_f64 v[208:209], v[116:117], 0, v[6:7]
	v_mul_f64 v[6:7], v[126:127], 0
	v_fma_f64 v[10:11], v[0:1], v[128:129], v[6:7]
	s_delay_alu instid0(VALU_DEP_1) | instskip(SKIP_1) | instid1(VALU_DEP_1)
	v_fma_f64 v[212:213], v[118:119], 0, v[10:11]
	;; [unrolled: 4-line block ×3, first 2 shown]
	v_fma_f64 v[0:1], v[100:101], v[124:125], v[2:3]
	v_fma_f64 v[202:203], v[116:117], 0, v[0:1]
	;; [unrolled: 1-line block ×3, first 2 shown]
	s_delay_alu instid0(VALU_DEP_1) | instskip(SKIP_1) | instid1(VALU_DEP_1)
	v_fma_f64 v[204:205], v[118:119], 0, v[0:1]
	v_fma_f64 v[0:1], v[100:101], v[132:133], v[10:11]
	;; [unrolled: 1-line block ×4, first 2 shown]
	s_delay_alu instid0(VALU_DEP_1) | instskip(SKIP_1) | instid1(VALU_DEP_1)
	v_fma_f64 v[196:197], v[116:117], 0, v[0:1]
	v_fma_f64 v[0:1], v[12:13], v[128:129], v[6:7]
	;; [unrolled: 1-line block ×4, first 2 shown]
	s_delay_alu instid0(VALU_DEP_1) | instskip(SKIP_2) | instid1(VALU_DEP_2)
	v_fma_f64 v[198:199], v[114:115], 0, v[0:1]
	v_fma_f64 v[0:1], v[4:5], v[124:125], v[2:3]
	;; [unrolled: 1-line block ×5, first 2 shown]
	s_delay_alu instid0(VALU_DEP_3) | instskip(SKIP_2) | instid1(VALU_DEP_4)
	v_fma_f64 v[188:189], v[88:89], v[118:119], v[2:3]
	v_fma_f64 v[182:183], v[86:87], v[118:119], v[2:3]
	;; [unrolled: 1-line block ×7, first 2 shown]
	s_delay_alu instid0(VALU_DEP_3) | instskip(NEXT) | instid1(VALU_DEP_3)
	v_fma_f64 v[194:195], v[114:115], 0, v[0:1]
	v_fma_f64 v[186:187], v[88:89], v[114:115], v[10:11]
	;; [unrolled: 1-line block ×5, first 2 shown]
	v_div_scale_f64 v[10:11], null, v[120:121], v[120:121], 1.0
	v_fma_f64 v[0:1], v[122:123], 0, v[134:135]
	s_delay_alu instid0(VALU_DEP_2) | instskip(NEXT) | instid1(VALU_DEP_1)
	v_rcp_f64_e32 v[12:13], v[10:11]
	v_fma_f64 v[184:185], v[88:89], v[116:117], v[0:1]
	v_fma_f64 v[178:179], v[86:87], v[116:117], v[0:1]
	;; [unrolled: 1-line block ×4, first 2 shown]
	s_waitcnt_depctr 0xfff
	v_fma_f64 v[14:15], -v[10:11], v[12:13], 1.0
	s_delay_alu instid0(VALU_DEP_1) | instskip(NEXT) | instid1(VALU_DEP_1)
	v_fma_f64 v[12:13], v[12:13], v[14:15], v[12:13]
	v_fma_f64 v[14:15], -v[10:11], v[12:13], 1.0
	s_delay_alu instid0(VALU_DEP_1) | instskip(SKIP_1) | instid1(VALU_DEP_1)
	v_fma_f64 v[12:13], v[12:13], v[14:15], v[12:13]
	v_div_scale_f64 v[14:15], vcc_lo, 1.0, v[120:121], 1.0
	v_mul_f64 v[100:101], v[14:15], v[12:13]
	s_delay_alu instid0(VALU_DEP_1) | instskip(NEXT) | instid1(VALU_DEP_1)
	v_fma_f64 v[10:11], -v[10:11], v[100:101], v[14:15]
	v_div_fmas_f64 v[10:11], v[10:11], v[12:13], v[100:101]
	s_and_b32 vcc_lo, exec_lo, s0
	s_mov_b32 s0, 1
	s_delay_alu instid0(VALU_DEP_1) | instskip(NEXT) | instid1(VALU_DEP_1)
	v_div_fixup_f64 v[10:11], v[10:11], v[120:121], 1.0
	v_mul_f64 v[12:13], v[102:103], v[10:11]
	v_mul_f64 v[14:15], v[108:109], v[10:11]
	;; [unrolled: 1-line block ×10, first 2 shown]
	v_mul_f64 v[112:113], v[14:15], -v[84:85]
	v_mul_f64 v[244:245], v[14:15], -s[8:9]
	v_mul_f64 v[252:253], s[8:9], v[14:15]
	v_mul_f64 v[116:117], v[102:103], -v[84:85]
	v_mul_f64 v[246:247], v[102:103], -s[8:9]
	;; [unrolled: 1-line block ×4, first 2 shown]
	v_mul_f64 v[250:251], v[84:85], v[104:105]
	v_mul_f64 v[254:255], s[8:9], v[104:105]
	v_fma_f64 v[114:115], v[14:15], -v[84:85], v[106:107]
	v_fma_f64 v[122:123], v[84:85], v[14:15], v[106:107]
	s_delay_alu instid0(VALU_DEP_2) | instskip(SKIP_1) | instid1(VALU_DEP_3)
	v_fma_f64 v[168:169], v[8:9], v[100:101], v[114:115]
	v_mul_f64 v[114:115], v[108:109], 0
	v_fma_f64 v[156:157], s[10:11], v[100:101], v[122:123]
	v_mul_f64 v[122:123], v[84:85], v[102:103]
	s_delay_alu instid0(VALU_DEP_3) | instskip(SKIP_1) | instid1(VALU_DEP_2)
	v_fma_f64 v[118:119], v[102:103], -v[84:85], v[114:115]
	v_fma_f64 v[124:125], v[84:85], v[102:103], v[114:115]
	v_fma_f64 v[172:173], v[8:9], v[110:111], v[118:119]
	v_mul_f64 v[118:119], v[240:241], 0
	s_delay_alu instid0(VALU_DEP_3) | instskip(NEXT) | instid1(VALU_DEP_2)
	v_fma_f64 v[160:161], s[10:11], v[110:111], v[124:125]
	v_fma_f64 v[120:121], v[104:105], -v[84:85], v[118:119]
	v_fma_f64 v[124:125], v[84:85], v[104:105], v[118:119]
	s_delay_alu instid0(VALU_DEP_2) | instskip(SKIP_2) | instid1(VALU_DEP_4)
	v_fma_f64 v[170:171], v[8:9], v[10:11], v[120:121]
	v_fma_f64 v[120:121], v[14:15], -s[8:9], v[106:107]
	v_fma_f64 v[106:107], s[8:9], v[14:15], v[106:107]
	v_fma_f64 v[158:159], s[10:11], v[10:11], v[124:125]
	s_delay_alu instid0(VALU_DEP_3)
	v_fma_f64 v[162:163], -v[100:101], v[8:9], v[120:121]
	v_fma_f64 v[120:121], v[102:103], -s[8:9], v[114:115]
	v_fma_f64 v[114:115], s[8:9], v[102:103], v[114:115]
	v_fma_f64 v[150:151], -v[100:101], s[10:11], v[106:107]
	v_mul_f64 v[106:107], s[8:9], v[102:103]
	v_mul_f64 v[102:103], v[102:103], 0
	v_fma_f64 v[164:165], -v[110:111], v[8:9], v[120:121]
	v_fma_f64 v[120:121], v[104:105], -s[8:9], v[118:119]
	v_fma_f64 v[152:153], -v[110:111], s[10:11], v[114:115]
	v_fma_f64 v[114:115], s[8:9], v[104:105], v[118:119]
	v_mul_f64 v[104:105], v[104:105], 0
	s_delay_alu instid0(VALU_DEP_4) | instskip(SKIP_3) | instid1(VALU_DEP_2)
	v_fma_f64 v[166:167], -v[10:11], v[8:9], v[120:121]
	v_mul_f64 v[120:121], v[84:85], v[14:15]
	v_mul_f64 v[14:15], v[14:15], 0
	v_fma_f64 v[154:155], -v[10:11], s[10:11], v[114:115]
	v_fma_f64 v[114:115], v[82:83], v[12:13], v[14:15]
	s_delay_alu instid0(VALU_DEP_1) | instskip(SKIP_1) | instid1(VALU_DEP_1)
	v_fma_f64 v[144:145], v[100:101], -v[8:9], v[114:115]
	v_fma_f64 v[114:115], v[82:83], v[108:109], v[102:103]
	v_fma_f64 v[148:149], v[110:111], -v[8:9], v[114:115]
	v_fma_f64 v[114:115], v[82:83], v[240:241], v[104:105]
	s_delay_alu instid0(VALU_DEP_1) | instskip(SKIP_1) | instid1(VALU_DEP_1)
	v_fma_f64 v[146:147], v[10:11], -v[8:9], v[114:115]
	v_fma_f64 v[114:115], s[6:7], v[12:13], v[14:15]
	v_fma_f64 v[138:139], v[8:9], v[100:101], v[114:115]
	;; [unrolled: 1-line block ×3, first 2 shown]
	s_delay_alu instid0(VALU_DEP_1) | instskip(SKIP_1) | instid1(VALU_DEP_1)
	v_fma_f64 v[140:141], v[8:9], v[110:111], v[114:115]
	v_fma_f64 v[114:115], s[6:7], v[240:241], v[104:105]
	;; [unrolled: 1-line block ×3, first 2 shown]
	v_fma_f64 v[8:9], -v[12:13], v[82:83], v[14:15]
	s_delay_alu instid0(VALU_DEP_1) | instskip(SKIP_1) | instid1(VALU_DEP_1)
	v_fma_f64 v[132:133], v[100:101], -s[10:11], v[8:9]
	v_fma_f64 v[8:9], -v[108:109], v[82:83], v[102:103]
	v_fma_f64 v[136:137], v[110:111], -s[10:11], v[8:9]
	v_fma_f64 v[8:9], -v[240:241], v[82:83], v[104:105]
	s_delay_alu instid0(VALU_DEP_1) | instskip(SKIP_1) | instid1(VALU_DEP_1)
	v_fma_f64 v[134:135], v[10:11], -s[10:11], v[8:9]
	v_fma_f64 v[8:9], -v[12:13], s[6:7], v[14:15]
	v_fma_f64 v[126:127], s[10:11], v[100:101], v[8:9]
	v_fma_f64 v[8:9], -v[108:109], s[6:7], v[102:103]
	s_delay_alu instid0(VALU_DEP_1) | instskip(SKIP_1) | instid1(VALU_DEP_1)
	v_fma_f64 v[128:129], s[10:11], v[110:111], v[8:9]
	v_fma_f64 v[8:9], -v[240:241], s[6:7], v[104:105]
	v_fma_f64 v[130:131], s[10:11], v[10:11], v[8:9]
	v_fma_f64 v[8:9], v[12:13], -v[82:83], v[120:121]
	s_mov_b32 s10, 0
	s_delay_alu instid0(VALU_DEP_1) | instskip(SKIP_1) | instid1(VALU_DEP_1)
	v_fma_f64 v[120:121], v[100:101], 0, v[8:9]
	v_fma_f64 v[8:9], v[108:109], -v[82:83], v[122:123]
	v_fma_f64 v[124:125], v[110:111], 0, v[8:9]
	v_fma_f64 v[8:9], v[240:241], -v[82:83], v[250:251]
	s_delay_alu instid0(VALU_DEP_1) | instskip(SKIP_1) | instid1(VALU_DEP_1)
	v_fma_f64 v[122:123], v[10:11], 0, v[8:9]
	v_fma_f64 v[8:9], v[12:13], -s[6:7], v[112:113]
	v_fma_f64 v[114:115], v[100:101], 0, v[8:9]
	v_fma_f64 v[8:9], v[108:109], -s[6:7], v[116:117]
	s_delay_alu instid0(VALU_DEP_1) | instskip(SKIP_1) | instid1(VALU_DEP_1)
	v_fma_f64 v[116:117], v[110:111], 0, v[8:9]
	v_fma_f64 v[8:9], v[240:241], -s[6:7], v[242:243]
	v_fma_f64 v[118:119], v[10:11], 0, v[8:9]
	v_fma_f64 v[8:9], v[82:83], v[12:13], v[252:253]
	scratch_load_b128 v[250:253], off, off offset:48
	v_fma_f64 v[104:105], v[100:101], 0, v[8:9]
	v_fma_f64 v[8:9], v[82:83], v[108:109], v[106:107]
	s_delay_alu instid0(VALU_DEP_1) | instskip(SKIP_1) | instid1(VALU_DEP_1)
	v_fma_f64 v[112:113], v[110:111], 0, v[8:9]
	v_fma_f64 v[8:9], v[82:83], v[240:241], v[254:255]
	;; [unrolled: 1-line block ×4, first 2 shown]
	scratch_load_b128 v[242:245], off, off offset:16
	v_fma_f64 v[102:103], v[100:101], 0, v[8:9]
	v_fma_f64 v[8:9], s[6:7], v[108:109], v[246:247]
	v_ldexp_f64 v[100:101], |v[238:239]|, -3
	s_delay_alu instid0(VALU_DEP_2)
	v_fma_f64 v[108:109], v[110:111], 0, v[8:9]
	v_fma_f64 v[8:9], s[6:7], v[240:241], v[248:249]
	s_clause 0x1
	scratch_load_b128 v[238:241], off, off
	scratch_load_b128 v[246:249], off, off offset:32
	v_fma_f64 v[110:111], v[10:11], 0, v[8:9]
	v_mul_f64 v[8:9], v[234:235], v[234:235]
	s_delay_alu instid0(VALU_DEP_1) | instskip(NEXT) | instid1(VALU_DEP_1)
	v_fma_f64 v[8:9], v[232:233], v[232:233], v[8:9]
	v_fma_f64 v[8:9], v[236:237], v[236:237], v[8:9]
	s_waitcnt vmcnt(1)
	s_delay_alu instid0(VALU_DEP_1) | instskip(SKIP_1) | instid1(VALU_DEP_1)
	v_fma_f64 v[238:239], v[100:101], v[8:9], v[238:239]
	v_mul_f64 v[8:9], v[234:235], v[228:229]
	v_fma_f64 v[8:9], v[232:233], v[226:227], v[8:9]
	s_delay_alu instid0(VALU_DEP_1) | instskip(NEXT) | instid1(VALU_DEP_1)
	v_fma_f64 v[8:9], v[236:237], v[230:231], v[8:9]
	v_fma_f64 v[240:241], v[100:101], v[8:9], v[240:241]
	v_mul_f64 v[8:9], v[234:235], v[224:225]
	s_delay_alu instid0(VALU_DEP_1) | instskip(NEXT) | instid1(VALU_DEP_1)
	v_fma_f64 v[8:9], v[232:233], v[220:221], v[8:9]
	v_fma_f64 v[8:9], v[236:237], v[222:223], v[8:9]
	s_delay_alu instid0(VALU_DEP_1) | instskip(SKIP_1) | instid1(VALU_DEP_1)
	v_fma_f64 v[242:243], v[100:101], v[8:9], v[242:243]
	v_mul_f64 v[8:9], v[234:235], v[216:217]
	v_fma_f64 v[8:9], v[232:233], v[214:215], v[8:9]
	s_delay_alu instid0(VALU_DEP_1) | instskip(NEXT) | instid1(VALU_DEP_1)
	v_fma_f64 v[8:9], v[236:237], v[218:219], v[8:9]
	v_fma_f64 v[244:245], v[100:101], v[8:9], v[244:245]
	v_mul_f64 v[8:9], v[234:235], v[212:213]
	s_clause 0x1
	scratch_store_b128 off, v[238:241], off
	scratch_store_b128 off, v[242:245], off offset:16
	v_fma_f64 v[8:9], v[232:233], v[208:209], v[8:9]
	s_delay_alu instid0(VALU_DEP_1) | instskip(SKIP_1) | instid1(VALU_DEP_1)
	v_fma_f64 v[8:9], v[236:237], v[210:211], v[8:9]
	s_waitcnt vmcnt(0)
	v_fma_f64 v[246:247], v[100:101], v[8:9], v[246:247]
	v_mul_f64 v[8:9], v[234:235], v[204:205]
	s_delay_alu instid0(VALU_DEP_1) | instskip(NEXT) | instid1(VALU_DEP_1)
	v_fma_f64 v[8:9], v[232:233], v[202:203], v[8:9]
	v_fma_f64 v[8:9], v[236:237], v[206:207], v[8:9]
	s_delay_alu instid0(VALU_DEP_1) | instskip(SKIP_1) | instid1(VALU_DEP_1)
	v_fma_f64 v[248:249], v[100:101], v[8:9], v[248:249]
	v_mul_f64 v[8:9], v[234:235], v[200:201]
	v_fma_f64 v[8:9], v[232:233], v[196:197], v[8:9]
	s_delay_alu instid0(VALU_DEP_1) | instskip(NEXT) | instid1(VALU_DEP_1)
	v_fma_f64 v[8:9], v[236:237], v[198:199], v[8:9]
	v_fma_f64 v[250:251], v[100:101], v[8:9], v[250:251]
	v_mul_f64 v[8:9], v[234:235], v[192:193]
	s_delay_alu instid0(VALU_DEP_1) | instskip(NEXT) | instid1(VALU_DEP_1)
	v_fma_f64 v[8:9], v[232:233], v[190:191], v[8:9]
	v_fma_f64 v[8:9], v[236:237], v[194:195], v[8:9]
	s_delay_alu instid0(VALU_DEP_1) | instskip(SKIP_1) | instid1(VALU_DEP_1)
	v_fma_f64 v[252:253], v[100:101], v[8:9], v[252:253]
	v_mul_f64 v[8:9], v[234:235], v[188:189]
	v_fma_f64 v[8:9], v[232:233], v[184:185], v[8:9]
	s_delay_alu instid0(VALU_DEP_1) | instskip(SKIP_4) | instid1(VALU_DEP_1)
	v_fma_f64 v[12:13], v[236:237], v[186:187], v[8:9]
	scratch_load_b128 v[8:11], off, off offset:64
	s_waitcnt vmcnt(0)
	v_fma_f64 v[8:9], v[100:101], v[12:13], v[8:9]
	v_mul_f64 v[12:13], v[234:235], v[182:183]
	v_fma_f64 v[12:13], v[232:233], v[178:179], v[12:13]
	s_delay_alu instid0(VALU_DEP_1) | instskip(NEXT) | instid1(VALU_DEP_1)
	v_fma_f64 v[12:13], v[236:237], v[180:181], v[12:13]
	v_fma_f64 v[10:11], v[100:101], v[12:13], v[10:11]
	v_mul_f64 v[12:13], v[234:235], v[176:177]
	v_mul_f64 v[234:235], v[234:235], v[4:5]
	s_clause 0x1
	scratch_store_b128 off, v[246:249], off offset:32
	scratch_store_b128 off, v[8:11], off offset:64
	v_fma_f64 v[12:13], v[232:233], v[174:175], v[12:13]
	v_fma_f64 v[232:233], v[232:233], v[0:1], v[234:235]
	s_delay_alu instid0(VALU_DEP_2) | instskip(SKIP_3) | instid1(VALU_DEP_1)
	v_fma_f64 v[238:239], v[236:237], v[6:7], v[12:13]
	scratch_load_b128 v[12:15], off, off offset:80
	v_fma_f64 v[232:233], v[236:237], v[2:3], v[232:233]
	s_waitcnt vmcnt(0)
	v_fma_f64 v[14:15], v[100:101], v[232:233], v[14:15]
	v_mul_f64 v[232:233], v[228:229], v[228:229]
	v_fma_f64 v[12:13], v[100:101], v[238:239], v[12:13]
	s_delay_alu instid0(VALU_DEP_2) | instskip(NEXT) | instid1(VALU_DEP_1)
	v_fma_f64 v[232:233], v[226:227], v[226:227], v[232:233]
	v_fma_f64 v[236:237], v[230:231], v[230:231], v[232:233]
	scratch_load_b128 v[232:235], off, off offset:104
	s_waitcnt vmcnt(0)
	v_fma_f64 v[238:239], v[100:101], v[236:237], v[232:233]
	v_mul_f64 v[232:233], v[228:229], v[224:225]
	v_dual_mov_b32 v236, v240 :: v_dual_mov_b32 v237, v241
	s_clause 0x1
	scratch_store_b128 off, v[12:15], off offset:80
	scratch_store_b128 off, v[236:239], off offset:96
	v_fma_f64 v[232:233], v[226:227], v[220:221], v[232:233]
	s_delay_alu instid0(VALU_DEP_1) | instskip(NEXT) | instid1(VALU_DEP_1)
	v_fma_f64 v[232:233], v[230:231], v[222:223], v[232:233]
	v_fma_f64 v[232:233], v[100:101], v[232:233], v[234:235]
	v_dual_mov_b32 v234, v242 :: v_dual_mov_b32 v235, v243
	v_dual_mov_b32 v236, v244 :: v_dual_mov_b32 v237, v245
	s_delay_alu instid0(VALU_DEP_3) | instskip(SKIP_2) | instid1(VALU_DEP_1)
	v_dual_mov_b32 v236, v232 :: v_dual_mov_b32 v237, v233
	scratch_store_b128 off, v[234:237], off offset:192
	v_mul_f64 v[234:235], v[228:229], v[216:217]
	v_fma_f64 v[234:235], v[226:227], v[214:215], v[234:235]
	s_delay_alu instid0(VALU_DEP_1)
	v_fma_f64 v[238:239], v[230:231], v[218:219], v[234:235]
	scratch_load_b128 v[234:237], off, off offset:120
	s_waitcnt vmcnt(0)
	v_fma_f64 v[234:235], v[100:101], v[238:239], v[234:235]
	scratch_store_b128 off, v[232:235], off offset:112
	v_dual_mov_b32 v232, v244 :: v_dual_mov_b32 v233, v245
	scratch_store_b128 off, v[232:235], off offset:288
	v_mul_f64 v[232:233], v[228:229], v[212:213]
	s_delay_alu instid0(VALU_DEP_1) | instskip(NEXT) | instid1(VALU_DEP_1)
	v_fma_f64 v[232:233], v[226:227], v[208:209], v[232:233]
	v_fma_f64 v[232:233], v[230:231], v[210:211], v[232:233]
	s_delay_alu instid0(VALU_DEP_1) | instskip(SKIP_2) | instid1(VALU_DEP_3)
	v_fma_f64 v[232:233], v[100:101], v[232:233], v[236:237]
	v_dual_mov_b32 v234, v246 :: v_dual_mov_b32 v235, v247
	v_dual_mov_b32 v236, v248 :: v_dual_mov_b32 v237, v249
	;; [unrolled: 1-line block ×3, first 2 shown]
	scratch_store_b128 off, v[234:237], off offset:384
	v_mul_f64 v[234:235], v[228:229], v[204:205]
	s_delay_alu instid0(VALU_DEP_1) | instskip(NEXT) | instid1(VALU_DEP_1)
	v_fma_f64 v[234:235], v[226:227], v[202:203], v[234:235]
	v_fma_f64 v[238:239], v[230:231], v[206:207], v[234:235]
	scratch_load_b128 v[234:237], off, off offset:136
	s_waitcnt vmcnt(0)
	v_fma_f64 v[234:235], v[100:101], v[238:239], v[234:235]
	scratch_store_b128 off, v[232:235], off offset:128
	v_dual_mov_b32 v232, v248 :: v_dual_mov_b32 v233, v249
	scratch_store_b128 off, v[232:235], off offset:480
	v_mul_f64 v[232:233], v[228:229], v[200:201]
	s_delay_alu instid0(VALU_DEP_1) | instskip(NEXT) | instid1(VALU_DEP_1)
	v_fma_f64 v[232:233], v[226:227], v[196:197], v[232:233]
	v_fma_f64 v[232:233], v[230:231], v[198:199], v[232:233]
	s_delay_alu instid0(VALU_DEP_1) | instskip(SKIP_2) | instid1(VALU_DEP_3)
	v_fma_f64 v[232:233], v[100:101], v[232:233], v[236:237]
	v_dual_mov_b32 v234, v250 :: v_dual_mov_b32 v235, v251
	v_dual_mov_b32 v236, v252 :: v_dual_mov_b32 v237, v253
	;; [unrolled: 1-line block ×3, first 2 shown]
	scratch_store_b128 off, v[234:237], off offset:576
	v_mul_f64 v[234:235], v[228:229], v[192:193]
	s_delay_alu instid0(VALU_DEP_1) | instskip(NEXT) | instid1(VALU_DEP_1)
	v_fma_f64 v[234:235], v[226:227], v[190:191], v[234:235]
	v_fma_f64 v[238:239], v[230:231], v[194:195], v[234:235]
	scratch_load_b128 v[234:237], off, off offset:152
	s_waitcnt vmcnt(0)
	v_fma_f64 v[234:235], v[100:101], v[238:239], v[234:235]
	scratch_store_b128 off, v[232:235], off offset:144
	v_dual_mov_b32 v232, v252 :: v_dual_mov_b32 v233, v253
	scratch_store_b128 off, v[232:235], off offset:672
	v_mul_f64 v[232:233], v[228:229], v[188:189]
	s_delay_alu instid0(VALU_DEP_1) | instskip(NEXT) | instid1(VALU_DEP_1)
	v_fma_f64 v[232:233], v[226:227], v[184:185], v[232:233]
	v_fma_f64 v[232:233], v[230:231], v[186:187], v[232:233]
	s_delay_alu instid0(VALU_DEP_1) | instskip(SKIP_3) | instid1(VALU_DEP_4)
	v_fma_f64 v[232:233], v[100:101], v[232:233], v[236:237]
	v_dual_mov_b32 v237, v11 :: v_dual_mov_b32 v236, v10
	v_dual_mov_b32 v235, v9 :: v_dual_mov_b32 v234, v8
	v_mul_f64 v[8:9], v[228:229], v[182:183]
	v_dual_mov_b32 v236, v232 :: v_dual_mov_b32 v237, v233
	s_delay_alu instid0(VALU_DEP_2) | instskip(SKIP_4) | instid1(VALU_DEP_1)
	v_fma_f64 v[8:9], v[226:227], v[178:179], v[8:9]
	scratch_store_b128 off, v[234:237], off offset:768
	scratch_load_b128 v[234:237], off, off offset:168
	v_fma_f64 v[8:9], v[230:231], v[180:181], v[8:9]
	s_waitcnt vmcnt(0)
	v_fma_f64 v[234:235], v[100:101], v[8:9], v[234:235]
	v_mul_f64 v[8:9], v[228:229], v[176:177]
	scratch_store_b128 off, v[232:235], off offset:160
	v_fma_f64 v[8:9], v[226:227], v[174:175], v[8:9]
	v_dual_mov_b32 v232, v10 :: v_dual_mov_b32 v233, v11
	s_delay_alu instid0(VALU_DEP_2) | instskip(NEXT) | instid1(VALU_DEP_1)
	v_fma_f64 v[8:9], v[230:231], v[6:7], v[8:9]
	v_fma_f64 v[8:9], v[100:101], v[8:9], v[236:237]
	v_mov_b32_e32 v10, v12
	v_dual_mov_b32 v11, v13 :: v_dual_mov_b32 v12, v14
	s_delay_alu instid0(VALU_DEP_3) | instskip(NEXT) | instid1(VALU_DEP_4)
	v_dual_mov_b32 v13, v15 :: v_dual_mov_b32 v12, v8
	v_mov_b32_e32 v13, v9
	scratch_store_b128 off, v[10:13], off offset:960
	scratch_load_b64 v[12:13], off, off offset:184
	v_mul_f64 v[10:11], v[228:229], v[4:5]
	s_delay_alu instid0(VALU_DEP_1) | instskip(SKIP_3) | instid1(VALU_DEP_1)
	v_fma_f64 v[10:11], v[226:227], v[0:1], v[10:11]
	scratch_load_b128 v[226:229], off, off offset:240
	v_fma_f64 v[10:11], v[230:231], v[2:3], v[10:11]
	s_waitcnt vmcnt(1)
	v_fma_f64 v[10:11], v[100:101], v[10:11], v[12:13]
	scratch_store_b128 off, v[232:235], off offset:864
	s_clause 0x1
	scratch_load_b128 v[230:233], off, off offset:256
	scratch_load_b128 v[234:237], off, off offset:272
	scratch_store_b128 off, v[8:11], off offset:176
	v_dual_mov_b32 v8, v14 :: v_dual_mov_b32 v9, v15
	scratch_store_b128 off, v[8:11], off offset:1056
	v_mul_f64 v[8:9], v[224:225], v[224:225]
	s_delay_alu instid0(VALU_DEP_1) | instskip(NEXT) | instid1(VALU_DEP_1)
	v_fma_f64 v[8:9], v[220:221], v[220:221], v[8:9]
	v_fma_f64 v[12:13], v[222:223], v[222:223], v[8:9]
	scratch_load_b128 v[8:11], off, off offset:208
	s_waitcnt vmcnt(0)
	v_fma_f64 v[8:9], v[100:101], v[12:13], v[8:9]
	v_mul_f64 v[12:13], v[224:225], v[216:217]
	s_delay_alu instid0(VALU_DEP_1) | instskip(NEXT) | instid1(VALU_DEP_1)
	v_fma_f64 v[12:13], v[220:221], v[214:215], v[12:13]
	v_fma_f64 v[12:13], v[222:223], v[218:219], v[12:13]
	s_delay_alu instid0(VALU_DEP_1) | instskip(SKIP_4) | instid1(VALU_DEP_2)
	v_fma_f64 v[10:11], v[100:101], v[12:13], v[10:11]
	scratch_load_b128 v[12:15], off, off offset:224
	scratch_store_b128 off, v[8:11], off offset:208
	v_mul_f64 v[8:9], v[224:225], v[212:213]
	v_dual_mov_b32 v238, v10 :: v_dual_mov_b32 v239, v11
	v_fma_f64 v[8:9], v[220:221], v[208:209], v[8:9]
	s_delay_alu instid0(VALU_DEP_1) | instskip(SKIP_1) | instid1(VALU_DEP_1)
	v_fma_f64 v[8:9], v[222:223], v[210:211], v[8:9]
	s_waitcnt vmcnt(0)
	v_fma_f64 v[12:13], v[100:101], v[8:9], v[12:13]
	v_mul_f64 v[8:9], v[224:225], v[204:205]
	s_delay_alu instid0(VALU_DEP_1) | instskip(NEXT) | instid1(VALU_DEP_1)
	v_fma_f64 v[8:9], v[220:221], v[202:203], v[8:9]
	v_fma_f64 v[8:9], v[222:223], v[206:207], v[8:9]
	s_delay_alu instid0(VALU_DEP_1) | instskip(SKIP_3) | instid1(VALU_DEP_1)
	v_fma_f64 v[14:15], v[100:101], v[8:9], v[14:15]
	v_mul_f64 v[8:9], v[224:225], v[200:201]
	scratch_store_b128 off, v[12:15], off offset:224
	v_fma_f64 v[8:9], v[220:221], v[196:197], v[8:9]
	v_fma_f64 v[8:9], v[222:223], v[198:199], v[8:9]
	s_delay_alu instid0(VALU_DEP_1) | instskip(SKIP_1) | instid1(VALU_DEP_1)
	v_fma_f64 v[226:227], v[100:101], v[8:9], v[226:227]
	v_mul_f64 v[8:9], v[224:225], v[192:193]
	v_fma_f64 v[8:9], v[220:221], v[190:191], v[8:9]
	s_delay_alu instid0(VALU_DEP_1) | instskip(NEXT) | instid1(VALU_DEP_1)
	v_fma_f64 v[8:9], v[222:223], v[194:195], v[8:9]
	v_fma_f64 v[228:229], v[100:101], v[8:9], v[228:229]
	v_mul_f64 v[8:9], v[224:225], v[188:189]
	s_delay_alu instid0(VALU_DEP_1) | instskip(NEXT) | instid1(VALU_DEP_1)
	v_fma_f64 v[8:9], v[220:221], v[184:185], v[8:9]
	v_fma_f64 v[8:9], v[222:223], v[186:187], v[8:9]
	s_delay_alu instid0(VALU_DEP_1) | instskip(SKIP_1) | instid1(VALU_DEP_1)
	v_fma_f64 v[230:231], v[100:101], v[8:9], v[230:231]
	v_mul_f64 v[8:9], v[224:225], v[182:183]
	v_fma_f64 v[8:9], v[220:221], v[178:179], v[8:9]
	s_delay_alu instid0(VALU_DEP_1) | instskip(NEXT) | instid1(VALU_DEP_1)
	v_fma_f64 v[8:9], v[222:223], v[180:181], v[8:9]
	v_fma_f64 v[232:233], v[100:101], v[8:9], v[232:233]
	v_mul_f64 v[8:9], v[224:225], v[176:177]
	s_delay_alu instid0(VALU_DEP_1) | instskip(NEXT) | instid1(VALU_DEP_1)
	v_fma_f64 v[8:9], v[220:221], v[174:175], v[8:9]
	v_fma_f64 v[8:9], v[222:223], v[6:7], v[8:9]
	s_delay_alu instid0(VALU_DEP_1) | instskip(SKIP_1) | instid1(VALU_DEP_1)
	v_fma_f64 v[234:235], v[100:101], v[8:9], v[234:235]
	v_mul_f64 v[8:9], v[224:225], v[4:5]
	v_fma_f64 v[8:9], v[220:221], v[0:1], v[8:9]
	s_delay_alu instid0(VALU_DEP_1) | instskip(SKIP_3) | instid1(VALU_DEP_1)
	v_fma_f64 v[8:9], v[222:223], v[2:3], v[8:9]
	scratch_load_b128 v[220:223], off, off offset:312
	v_fma_f64 v[236:237], v[100:101], v[8:9], v[236:237]
	v_mul_f64 v[8:9], v[216:217], v[216:217]
	v_fma_f64 v[8:9], v[214:215], v[214:215], v[8:9]
	s_delay_alu instid0(VALU_DEP_1) | instskip(SKIP_1) | instid1(VALU_DEP_1)
	v_fma_f64 v[8:9], v[218:219], v[218:219], v[8:9]
	s_waitcnt vmcnt(0)
	v_fma_f64 v[240:241], v[100:101], v[8:9], v[220:221]
	v_mul_f64 v[8:9], v[216:217], v[212:213]
	s_delay_alu instid0(VALU_DEP_1) | instskip(NEXT) | instid1(VALU_DEP_1)
	v_fma_f64 v[8:9], v[214:215], v[208:209], v[8:9]
	v_fma_f64 v[8:9], v[218:219], v[210:211], v[8:9]
	s_delay_alu instid0(VALU_DEP_1) | instskip(SKIP_2) | instid1(VALU_DEP_3)
	v_fma_f64 v[8:9], v[100:101], v[8:9], v[222:223]
	v_mov_b32_e32 v10, v12
	v_dual_mov_b32 v11, v13 :: v_dual_mov_b32 v12, v14
	v_dual_mov_b32 v13, v15 :: v_dual_mov_b32 v12, v8
	s_delay_alu instid0(VALU_DEP_4) | instskip(SKIP_2) | instid1(VALU_DEP_1)
	v_mov_b32_e32 v13, v9
	scratch_store_b128 off, v[10:13], off offset:400
	v_mul_f64 v[10:11], v[216:217], v[204:205]
	v_fma_f64 v[10:11], v[214:215], v[202:203], v[10:11]
	s_delay_alu instid0(VALU_DEP_1)
	v_fma_f64 v[220:221], v[218:219], v[206:207], v[10:11]
	scratch_load_b128 v[10:13], off, off offset:328
	s_waitcnt vmcnt(0)
	v_fma_f64 v[10:11], v[100:101], v[220:221], v[10:11]
	scratch_store_b128 off, v[8:11], off offset:320
	v_dual_mov_b32 v8, v14 :: v_dual_mov_b32 v9, v15
	scratch_store_b128 off, v[8:11], off offset:496
	v_mul_f64 v[8:9], v[216:217], v[200:201]
	s_delay_alu instid0(VALU_DEP_1) | instskip(NEXT) | instid1(VALU_DEP_1)
	v_fma_f64 v[8:9], v[214:215], v[196:197], v[8:9]
	v_fma_f64 v[8:9], v[218:219], v[198:199], v[8:9]
	s_delay_alu instid0(VALU_DEP_1) | instskip(SKIP_2) | instid1(VALU_DEP_3)
	v_fma_f64 v[8:9], v[100:101], v[8:9], v[12:13]
	v_dual_mov_b32 v10, v226 :: v_dual_mov_b32 v11, v227
	v_dual_mov_b32 v12, v228 :: v_dual_mov_b32 v13, v229
	;; [unrolled: 1-line block ×3, first 2 shown]
	scratch_store_b128 off, v[10:13], off offset:592
	v_mul_f64 v[10:11], v[216:217], v[192:193]
	s_delay_alu instid0(VALU_DEP_1) | instskip(NEXT) | instid1(VALU_DEP_1)
	v_fma_f64 v[10:11], v[214:215], v[190:191], v[10:11]
	v_fma_f64 v[14:15], v[218:219], v[194:195], v[10:11]
	scratch_load_b128 v[10:13], off, off offset:344
	s_waitcnt vmcnt(0)
	v_fma_f64 v[10:11], v[100:101], v[14:15], v[10:11]
	scratch_store_b128 off, v[8:11], off offset:336
	v_dual_mov_b32 v8, v228 :: v_dual_mov_b32 v9, v229
	scratch_store_b128 off, v[8:11], off offset:688
	v_mul_f64 v[8:9], v[216:217], v[188:189]
	s_delay_alu instid0(VALU_DEP_1) | instskip(NEXT) | instid1(VALU_DEP_1)
	v_fma_f64 v[8:9], v[214:215], v[184:185], v[8:9]
	v_fma_f64 v[8:9], v[218:219], v[186:187], v[8:9]
	s_delay_alu instid0(VALU_DEP_1) | instskip(SKIP_2) | instid1(VALU_DEP_3)
	v_fma_f64 v[8:9], v[100:101], v[8:9], v[12:13]
	v_dual_mov_b32 v10, v230 :: v_dual_mov_b32 v11, v231
	v_dual_mov_b32 v12, v232 :: v_dual_mov_b32 v13, v233
	;; [unrolled: 1-line block ×3, first 2 shown]
	scratch_store_b128 off, v[10:13], off offset:784
	v_mul_f64 v[10:11], v[216:217], v[182:183]
	s_delay_alu instid0(VALU_DEP_1) | instskip(NEXT) | instid1(VALU_DEP_1)
	v_fma_f64 v[10:11], v[214:215], v[178:179], v[10:11]
	v_fma_f64 v[14:15], v[218:219], v[180:181], v[10:11]
	scratch_load_b128 v[10:13], off, off offset:360
	s_waitcnt vmcnt(0)
	v_fma_f64 v[10:11], v[100:101], v[14:15], v[10:11]
	scratch_store_b128 off, v[8:11], off offset:352
	v_dual_mov_b32 v8, v232 :: v_dual_mov_b32 v9, v233
	scratch_store_b128 off, v[8:11], off offset:880
	v_mul_f64 v[8:9], v[216:217], v[176:177]
	s_delay_alu instid0(VALU_DEP_1) | instskip(NEXT) | instid1(VALU_DEP_1)
	v_fma_f64 v[8:9], v[214:215], v[174:175], v[8:9]
	v_fma_f64 v[8:9], v[218:219], v[6:7], v[8:9]
	s_delay_alu instid0(VALU_DEP_1) | instskip(SKIP_2) | instid1(VALU_DEP_3)
	v_fma_f64 v[8:9], v[100:101], v[8:9], v[12:13]
	v_dual_mov_b32 v10, v234 :: v_dual_mov_b32 v11, v235
	v_dual_mov_b32 v12, v236 :: v_dual_mov_b32 v13, v237
	;; [unrolled: 1-line block ×3, first 2 shown]
	scratch_store_b128 off, v[10:13], off offset:976
	scratch_load_b64 v[12:13], off, off offset:376
	v_mul_f64 v[10:11], v[216:217], v[4:5]
	s_delay_alu instid0(VALU_DEP_1)
	v_fma_f64 v[10:11], v[214:215], v[0:1], v[10:11]
	scratch_load_b128 v[214:217], off, off offset:448
	v_fma_f64 v[10:11], v[218:219], v[2:3], v[10:11]
	scratch_load_b128 v[218:221], off, off offset:464
	s_waitcnt vmcnt(2)
	v_fma_f64 v[10:11], v[100:101], v[10:11], v[12:13]
	scratch_store_b128 off, v[8:11], off offset:368
	v_dual_mov_b32 v8, v236 :: v_dual_mov_b32 v9, v237
	scratch_store_b128 off, v[8:11], off offset:1072
	v_mul_f64 v[8:9], v[212:213], v[212:213]
	s_delay_alu instid0(VALU_DEP_1) | instskip(NEXT) | instid1(VALU_DEP_1)
	v_fma_f64 v[8:9], v[208:209], v[208:209], v[8:9]
	v_fma_f64 v[12:13], v[210:211], v[210:211], v[8:9]
	scratch_load_b128 v[8:11], off, off offset:416
	s_waitcnt vmcnt(0)
	v_fma_f64 v[8:9], v[100:101], v[12:13], v[8:9]
	v_mul_f64 v[12:13], v[212:213], v[204:205]
	s_delay_alu instid0(VALU_DEP_1) | instskip(NEXT) | instid1(VALU_DEP_1)
	v_fma_f64 v[12:13], v[208:209], v[202:203], v[12:13]
	v_fma_f64 v[12:13], v[210:211], v[206:207], v[12:13]
	s_delay_alu instid0(VALU_DEP_1) | instskip(SKIP_4) | instid1(VALU_DEP_2)
	v_fma_f64 v[10:11], v[100:101], v[12:13], v[10:11]
	scratch_load_b128 v[12:15], off, off offset:432
	scratch_store_b128 off, v[8:11], off offset:416
	v_mul_f64 v[8:9], v[212:213], v[200:201]
	v_dual_mov_b32 v222, v10 :: v_dual_mov_b32 v223, v11
	v_fma_f64 v[8:9], v[208:209], v[196:197], v[8:9]
	s_delay_alu instid0(VALU_DEP_1) | instskip(SKIP_1) | instid1(VALU_DEP_1)
	v_fma_f64 v[8:9], v[210:211], v[198:199], v[8:9]
	s_waitcnt vmcnt(0)
	v_fma_f64 v[12:13], v[100:101], v[8:9], v[12:13]
	v_mul_f64 v[8:9], v[212:213], v[192:193]
	s_delay_alu instid0(VALU_DEP_1) | instskip(NEXT) | instid1(VALU_DEP_1)
	v_fma_f64 v[8:9], v[208:209], v[190:191], v[8:9]
	v_fma_f64 v[8:9], v[210:211], v[194:195], v[8:9]
	s_delay_alu instid0(VALU_DEP_1) | instskip(SKIP_3) | instid1(VALU_DEP_1)
	v_fma_f64 v[14:15], v[100:101], v[8:9], v[14:15]
	v_mul_f64 v[8:9], v[212:213], v[188:189]
	scratch_store_b128 off, v[12:15], off offset:432
	v_fma_f64 v[8:9], v[208:209], v[184:185], v[8:9]
	v_fma_f64 v[8:9], v[210:211], v[186:187], v[8:9]
	s_delay_alu instid0(VALU_DEP_1) | instskip(SKIP_1) | instid1(VALU_DEP_1)
	v_fma_f64 v[214:215], v[100:101], v[8:9], v[214:215]
	v_mul_f64 v[8:9], v[212:213], v[182:183]
	v_fma_f64 v[8:9], v[208:209], v[178:179], v[8:9]
	s_delay_alu instid0(VALU_DEP_1) | instskip(NEXT) | instid1(VALU_DEP_1)
	v_fma_f64 v[8:9], v[210:211], v[180:181], v[8:9]
	v_fma_f64 v[216:217], v[100:101], v[8:9], v[216:217]
	v_mul_f64 v[8:9], v[212:213], v[176:177]
	s_delay_alu instid0(VALU_DEP_1) | instskip(NEXT) | instid1(VALU_DEP_1)
	v_fma_f64 v[8:9], v[208:209], v[174:175], v[8:9]
	v_fma_f64 v[8:9], v[210:211], v[6:7], v[8:9]
	s_delay_alu instid0(VALU_DEP_1) | instskip(SKIP_1) | instid1(VALU_DEP_1)
	v_fma_f64 v[218:219], v[100:101], v[8:9], v[218:219]
	v_mul_f64 v[8:9], v[212:213], v[4:5]
	v_fma_f64 v[8:9], v[208:209], v[0:1], v[8:9]
	s_delay_alu instid0(VALU_DEP_1) | instskip(SKIP_3) | instid1(VALU_DEP_1)
	v_fma_f64 v[8:9], v[210:211], v[2:3], v[8:9]
	scratch_load_b128 v[208:211], off, off offset:520
	v_fma_f64 v[220:221], v[100:101], v[8:9], v[220:221]
	v_mul_f64 v[8:9], v[204:205], v[204:205]
	v_fma_f64 v[8:9], v[202:203], v[202:203], v[8:9]
	s_delay_alu instid0(VALU_DEP_1) | instskip(SKIP_1) | instid1(VALU_DEP_1)
	v_fma_f64 v[8:9], v[206:207], v[206:207], v[8:9]
	s_waitcnt vmcnt(0)
	v_fma_f64 v[224:225], v[100:101], v[8:9], v[208:209]
	v_mul_f64 v[8:9], v[204:205], v[200:201]
	s_delay_alu instid0(VALU_DEP_1) | instskip(NEXT) | instid1(VALU_DEP_1)
	v_fma_f64 v[8:9], v[202:203], v[196:197], v[8:9]
	v_fma_f64 v[8:9], v[206:207], v[198:199], v[8:9]
	s_delay_alu instid0(VALU_DEP_1) | instskip(SKIP_2) | instid1(VALU_DEP_3)
	v_fma_f64 v[8:9], v[100:101], v[8:9], v[210:211]
	v_mov_b32_e32 v10, v12
	v_dual_mov_b32 v11, v13 :: v_dual_mov_b32 v12, v14
	v_dual_mov_b32 v13, v15 :: v_dual_mov_b32 v12, v8
	s_delay_alu instid0(VALU_DEP_4) | instskip(SKIP_2) | instid1(VALU_DEP_1)
	v_mov_b32_e32 v13, v9
	scratch_store_b128 off, v[10:13], off offset:608
	v_mul_f64 v[10:11], v[204:205], v[192:193]
	v_fma_f64 v[10:11], v[202:203], v[190:191], v[10:11]
	s_delay_alu instid0(VALU_DEP_1)
	v_fma_f64 v[208:209], v[206:207], v[194:195], v[10:11]
	scratch_load_b128 v[10:13], off, off offset:536
	s_waitcnt vmcnt(0)
	v_fma_f64 v[10:11], v[100:101], v[208:209], v[10:11]
	scratch_store_b128 off, v[8:11], off offset:528
	v_dual_mov_b32 v8, v14 :: v_dual_mov_b32 v9, v15
	scratch_store_b128 off, v[8:11], off offset:704
	v_mul_f64 v[8:9], v[204:205], v[188:189]
	s_delay_alu instid0(VALU_DEP_1) | instskip(NEXT) | instid1(VALU_DEP_1)
	v_fma_f64 v[8:9], v[202:203], v[184:185], v[8:9]
	v_fma_f64 v[8:9], v[206:207], v[186:187], v[8:9]
	s_delay_alu instid0(VALU_DEP_1) | instskip(SKIP_2) | instid1(VALU_DEP_3)
	v_fma_f64 v[8:9], v[100:101], v[8:9], v[12:13]
	v_dual_mov_b32 v10, v214 :: v_dual_mov_b32 v11, v215
	v_dual_mov_b32 v12, v216 :: v_dual_mov_b32 v13, v217
	;; [unrolled: 1-line block ×3, first 2 shown]
	scratch_store_b128 off, v[10:13], off offset:800
	v_mul_f64 v[10:11], v[204:205], v[182:183]
	s_delay_alu instid0(VALU_DEP_1) | instskip(NEXT) | instid1(VALU_DEP_1)
	v_fma_f64 v[10:11], v[202:203], v[178:179], v[10:11]
	v_fma_f64 v[14:15], v[206:207], v[180:181], v[10:11]
	scratch_load_b128 v[10:13], off, off offset:552
	s_waitcnt vmcnt(0)
	v_fma_f64 v[10:11], v[100:101], v[14:15], v[10:11]
	scratch_store_b128 off, v[8:11], off offset:544
	v_dual_mov_b32 v8, v216 :: v_dual_mov_b32 v9, v217
	scratch_store_b128 off, v[8:11], off offset:896
	v_mul_f64 v[8:9], v[204:205], v[176:177]
	s_delay_alu instid0(VALU_DEP_1) | instskip(NEXT) | instid1(VALU_DEP_1)
	v_fma_f64 v[8:9], v[202:203], v[174:175], v[8:9]
	v_fma_f64 v[8:9], v[206:207], v[6:7], v[8:9]
	s_delay_alu instid0(VALU_DEP_1) | instskip(SKIP_2) | instid1(VALU_DEP_3)
	v_fma_f64 v[8:9], v[100:101], v[8:9], v[12:13]
	v_dual_mov_b32 v10, v218 :: v_dual_mov_b32 v11, v219
	v_dual_mov_b32 v12, v220 :: v_dual_mov_b32 v13, v221
	;; [unrolled: 1-line block ×3, first 2 shown]
	scratch_store_b128 off, v[10:13], off offset:992
	scratch_load_b64 v[12:13], off, off offset:568
	v_mul_f64 v[10:11], v[204:205], v[4:5]
	s_delay_alu instid0(VALU_DEP_1) | instskip(SKIP_3) | instid1(VALU_DEP_1)
	v_fma_f64 v[10:11], v[202:203], v[0:1], v[10:11]
	scratch_load_b128 v[202:205], off, off offset:656
	v_fma_f64 v[10:11], v[206:207], v[2:3], v[10:11]
	s_waitcnt vmcnt(1)
	v_fma_f64 v[10:11], v[100:101], v[10:11], v[12:13]
	scratch_store_b128 off, v[8:11], off offset:560
	v_dual_mov_b32 v8, v220 :: v_dual_mov_b32 v9, v221
	scratch_store_b128 off, v[8:11], off offset:1088
	v_mul_f64 v[8:9], v[200:201], v[200:201]
	s_delay_alu instid0(VALU_DEP_1) | instskip(NEXT) | instid1(VALU_DEP_1)
	v_fma_f64 v[8:9], v[196:197], v[196:197], v[8:9]
	v_fma_f64 v[12:13], v[198:199], v[198:199], v[8:9]
	scratch_load_b128 v[8:11], off, off offset:624
	s_waitcnt vmcnt(0)
	v_fma_f64 v[8:9], v[100:101], v[12:13], v[8:9]
	v_mul_f64 v[12:13], v[200:201], v[192:193]
	s_delay_alu instid0(VALU_DEP_1) | instskip(NEXT) | instid1(VALU_DEP_1)
	v_fma_f64 v[12:13], v[196:197], v[190:191], v[12:13]
	v_fma_f64 v[12:13], v[198:199], v[194:195], v[12:13]
	s_delay_alu instid0(VALU_DEP_1) | instskip(SKIP_4) | instid1(VALU_DEP_2)
	v_fma_f64 v[10:11], v[100:101], v[12:13], v[10:11]
	scratch_load_b128 v[12:15], off, off offset:640
	scratch_store_b128 off, v[8:11], off offset:624
	v_mul_f64 v[8:9], v[200:201], v[188:189]
	v_dual_mov_b32 v206, v10 :: v_dual_mov_b32 v207, v11
	v_fma_f64 v[8:9], v[196:197], v[184:185], v[8:9]
	s_delay_alu instid0(VALU_DEP_1) | instskip(SKIP_1) | instid1(VALU_DEP_1)
	v_fma_f64 v[8:9], v[198:199], v[186:187], v[8:9]
	s_waitcnt vmcnt(0)
	v_fma_f64 v[12:13], v[100:101], v[8:9], v[12:13]
	v_mul_f64 v[8:9], v[200:201], v[182:183]
	s_delay_alu instid0(VALU_DEP_1) | instskip(NEXT) | instid1(VALU_DEP_1)
	v_fma_f64 v[8:9], v[196:197], v[178:179], v[8:9]
	v_fma_f64 v[8:9], v[198:199], v[180:181], v[8:9]
	s_delay_alu instid0(VALU_DEP_1) | instskip(SKIP_3) | instid1(VALU_DEP_1)
	v_fma_f64 v[14:15], v[100:101], v[8:9], v[14:15]
	v_mul_f64 v[8:9], v[200:201], v[176:177]
	scratch_store_b128 off, v[12:15], off offset:640
	v_fma_f64 v[8:9], v[196:197], v[174:175], v[8:9]
	v_fma_f64 v[8:9], v[198:199], v[6:7], v[8:9]
	s_delay_alu instid0(VALU_DEP_1) | instskip(SKIP_1) | instid1(VALU_DEP_1)
	v_fma_f64 v[202:203], v[100:101], v[8:9], v[202:203]
	v_mul_f64 v[8:9], v[200:201], v[4:5]
	v_fma_f64 v[8:9], v[196:197], v[0:1], v[8:9]
	s_delay_alu instid0(VALU_DEP_1) | instskip(SKIP_3) | instid1(VALU_DEP_1)
	v_fma_f64 v[8:9], v[198:199], v[2:3], v[8:9]
	scratch_load_b128 v[196:199], off, off offset:728
	v_fma_f64 v[204:205], v[100:101], v[8:9], v[204:205]
	v_mul_f64 v[8:9], v[192:193], v[192:193]
	v_fma_f64 v[8:9], v[190:191], v[190:191], v[8:9]
	s_delay_alu instid0(VALU_DEP_1) | instskip(SKIP_1) | instid1(VALU_DEP_1)
	v_fma_f64 v[8:9], v[194:195], v[194:195], v[8:9]
	s_waitcnt vmcnt(0)
	v_fma_f64 v[208:209], v[100:101], v[8:9], v[196:197]
	v_mul_f64 v[8:9], v[192:193], v[188:189]
	s_delay_alu instid0(VALU_DEP_1) | instskip(NEXT) | instid1(VALU_DEP_1)
	v_fma_f64 v[8:9], v[190:191], v[184:185], v[8:9]
	v_fma_f64 v[8:9], v[194:195], v[186:187], v[8:9]
	s_delay_alu instid0(VALU_DEP_1) | instskip(SKIP_2) | instid1(VALU_DEP_3)
	v_fma_f64 v[8:9], v[100:101], v[8:9], v[198:199]
	v_mov_b32_e32 v10, v12
	v_dual_mov_b32 v11, v13 :: v_dual_mov_b32 v12, v14
	v_dual_mov_b32 v13, v15 :: v_dual_mov_b32 v12, v8
	s_delay_alu instid0(VALU_DEP_4) | instskip(SKIP_2) | instid1(VALU_DEP_1)
	v_mov_b32_e32 v13, v9
	scratch_store_b128 off, v[10:13], off offset:816
	v_mul_f64 v[10:11], v[192:193], v[182:183]
	v_fma_f64 v[10:11], v[190:191], v[178:179], v[10:11]
	s_delay_alu instid0(VALU_DEP_1)
	v_fma_f64 v[196:197], v[194:195], v[180:181], v[10:11]
	scratch_load_b128 v[10:13], off, off offset:744
	s_waitcnt vmcnt(0)
	v_fma_f64 v[10:11], v[100:101], v[196:197], v[10:11]
	scratch_store_b128 off, v[8:11], off offset:736
	v_dual_mov_b32 v8, v14 :: v_dual_mov_b32 v9, v15
	scratch_store_b128 off, v[8:11], off offset:912
	v_mul_f64 v[8:9], v[192:193], v[176:177]
	s_delay_alu instid0(VALU_DEP_1) | instskip(NEXT) | instid1(VALU_DEP_1)
	v_fma_f64 v[8:9], v[190:191], v[174:175], v[8:9]
	v_fma_f64 v[8:9], v[194:195], v[6:7], v[8:9]
	s_delay_alu instid0(VALU_DEP_1) | instskip(SKIP_2) | instid1(VALU_DEP_3)
	v_fma_f64 v[8:9], v[100:101], v[8:9], v[12:13]
	v_dual_mov_b32 v10, v202 :: v_dual_mov_b32 v11, v203
	v_dual_mov_b32 v12, v204 :: v_dual_mov_b32 v13, v205
	;; [unrolled: 1-line block ×3, first 2 shown]
	scratch_store_b128 off, v[10:13], off offset:1008
	scratch_load_b64 v[12:13], off, off offset:760
	v_mul_f64 v[10:11], v[192:193], v[4:5]
	s_delay_alu instid0(VALU_DEP_1) | instskip(NEXT) | instid1(VALU_DEP_1)
	v_fma_f64 v[10:11], v[190:191], v[0:1], v[10:11]
	v_fma_f64 v[10:11], v[194:195], v[2:3], v[10:11]
	s_waitcnt vmcnt(0)
	s_delay_alu instid0(VALU_DEP_1) | instskip(SKIP_4) | instid1(VALU_DEP_1)
	v_fma_f64 v[10:11], v[100:101], v[10:11], v[12:13]
	scratch_store_b128 off, v[8:11], off offset:752
	v_dual_mov_b32 v8, v204 :: v_dual_mov_b32 v9, v205
	scratch_store_b128 off, v[8:11], off offset:1104
	v_mul_f64 v[8:9], v[188:189], v[188:189]
	v_fma_f64 v[8:9], v[184:185], v[184:185], v[8:9]
	s_delay_alu instid0(VALU_DEP_1) | instskip(SKIP_4) | instid1(VALU_DEP_1)
	v_fma_f64 v[12:13], v[186:187], v[186:187], v[8:9]
	scratch_load_b128 v[8:11], off, off offset:832
	s_waitcnt vmcnt(0)
	v_fma_f64 v[8:9], v[100:101], v[12:13], v[8:9]
	v_mul_f64 v[12:13], v[188:189], v[182:183]
	v_fma_f64 v[12:13], v[184:185], v[178:179], v[12:13]
	s_delay_alu instid0(VALU_DEP_1) | instskip(NEXT) | instid1(VALU_DEP_1)
	v_fma_f64 v[12:13], v[186:187], v[180:181], v[12:13]
	v_fma_f64 v[10:11], v[100:101], v[12:13], v[10:11]
	scratch_load_b128 v[12:15], off, off offset:848
	scratch_store_b128 off, v[8:11], off offset:832
	v_mul_f64 v[8:9], v[188:189], v[176:177]
	s_delay_alu instid0(VALU_DEP_1) | instskip(NEXT) | instid1(VALU_DEP_1)
	v_fma_f64 v[8:9], v[184:185], v[174:175], v[8:9]
	v_fma_f64 v[8:9], v[186:187], v[6:7], v[8:9]
	s_waitcnt vmcnt(0)
	s_delay_alu instid0(VALU_DEP_1) | instskip(SKIP_2) | instid1(VALU_DEP_2)
	v_fma_f64 v[12:13], v[100:101], v[8:9], v[12:13]
	v_mul_f64 v[8:9], v[188:189], v[4:5]
	v_dual_mov_b32 v188, v10 :: v_dual_mov_b32 v189, v11
	v_fma_f64 v[8:9], v[184:185], v[0:1], v[8:9]
	s_delay_alu instid0(VALU_DEP_1)
	v_fma_f64 v[8:9], v[186:187], v[2:3], v[8:9]
	scratch_load_b128 v[184:187], off, off offset:936
	v_fma_f64 v[14:15], v[100:101], v[8:9], v[14:15]
	v_mul_f64 v[8:9], v[182:183], v[182:183]
	scratch_store_b128 off, v[12:15], off offset:848
	v_fma_f64 v[8:9], v[178:179], v[178:179], v[8:9]
	s_delay_alu instid0(VALU_DEP_1) | instskip(SKIP_1) | instid1(VALU_DEP_1)
	v_fma_f64 v[8:9], v[180:181], v[180:181], v[8:9]
	s_waitcnt vmcnt(0)
	v_fma_f64 v[190:191], v[100:101], v[8:9], v[184:185]
	v_mul_f64 v[8:9], v[182:183], v[176:177]
	s_delay_alu instid0(VALU_DEP_1) | instskip(NEXT) | instid1(VALU_DEP_1)
	v_fma_f64 v[8:9], v[178:179], v[174:175], v[8:9]
	v_fma_f64 v[8:9], v[180:181], v[6:7], v[8:9]
	s_delay_alu instid0(VALU_DEP_1) | instskip(SKIP_2) | instid1(VALU_DEP_3)
	v_fma_f64 v[8:9], v[100:101], v[8:9], v[186:187]
	v_mov_b32_e32 v10, v12
	v_dual_mov_b32 v11, v13 :: v_dual_mov_b32 v12, v14
	v_dual_mov_b32 v13, v15 :: v_dual_mov_b32 v12, v8
	s_delay_alu instid0(VALU_DEP_4) | instskip(SKIP_3) | instid1(VALU_DEP_1)
	v_mov_b32_e32 v13, v9
	scratch_store_b128 off, v[10:13], off offset:1024
	scratch_load_b64 v[12:13], off, off offset:952
	v_mul_f64 v[10:11], v[182:183], v[4:5]
	v_fma_f64 v[10:11], v[178:179], v[0:1], v[10:11]
	s_delay_alu instid0(VALU_DEP_1)
	v_fma_f64 v[10:11], v[180:181], v[2:3], v[10:11]
	scratch_load_b128 v[178:181], off, off offset:80
	s_waitcnt vmcnt(1)
	v_fma_f64 v[10:11], v[100:101], v[10:11], v[12:13]
	scratch_store_b128 off, v[8:11], off offset:944
	v_dual_mov_b32 v8, v14 :: v_dual_mov_b32 v9, v15
	scratch_store_b128 off, v[8:11], off offset:1120
	v_mul_f64 v[8:9], v[176:177], v[176:177]
	s_delay_alu instid0(VALU_DEP_1) | instskip(NEXT) | instid1(VALU_DEP_1)
	v_fma_f64 v[8:9], v[174:175], v[174:175], v[8:9]
	v_fma_f64 v[12:13], v[6:7], v[6:7], v[8:9]
	scratch_load_b128 v[8:11], off, off offset:1040
	s_waitcnt vmcnt(0)
	v_fma_f64 v[8:9], v[100:101], v[12:13], v[8:9]
	v_mul_f64 v[12:13], v[176:177], v[4:5]
	v_mul_f64 v[4:5], v[4:5], v[4:5]
	s_delay_alu instid0(VALU_DEP_2) | instskip(NEXT) | instid1(VALU_DEP_2)
	v_fma_f64 v[12:13], v[174:175], v[0:1], v[12:13]
	v_fma_f64 v[0:1], v[0:1], v[0:1], v[4:5]
	scratch_load_b128 v[174:177], off, off offset:64
	v_fma_f64 v[6:7], v[6:7], v[2:3], v[12:13]
	v_fma_f64 v[0:1], v[2:3], v[2:3], v[0:1]
	scratch_load_b64 v[2:3], off, off offset:1144
	v_fma_f64 v[10:11], v[100:101], v[6:7], v[10:11]
	s_waitcnt vmcnt(0)
	v_fma_f64 v[2:3], v[100:101], v[0:1], v[2:3]
	s_delay_alu instid0(VALU_DEP_2) | instskip(SKIP_4) | instid1(VALU_DEP_1)
	v_dual_mov_b32 v0, v10 :: v_dual_mov_b32 v1, v11
	scratch_store_b128 off, v[8:11], off offset:1040
	scratch_load_b128 v[8:11], off, off offset:32
	scratch_store_b128 off, v[0:3], off offset:1136
	v_mul_f64 v[0:1], v[172:173], v[172:173]
	v_fma_f64 v[0:1], v[168:169], v[168:169], v[0:1]
	s_delay_alu instid0(VALU_DEP_1) | instskip(SKIP_4) | instid1(VALU_DEP_1)
	v_fma_f64 v[4:5], v[170:171], v[170:171], v[0:1]
	scratch_load_b128 v[0:3], off, off
	s_waitcnt vmcnt(0)
	v_fma_f64 v[0:1], v[100:101], v[4:5], v[0:1]
	v_mul_f64 v[4:5], v[172:173], v[164:165]
	v_fma_f64 v[4:5], v[168:169], v[162:163], v[4:5]
	s_delay_alu instid0(VALU_DEP_1) | instskip(NEXT) | instid1(VALU_DEP_1)
	v_fma_f64 v[4:5], v[170:171], v[166:167], v[4:5]
	v_fma_f64 v[2:3], v[100:101], v[4:5], v[2:3]
	scratch_load_b128 v[4:7], off, off offset:16
	scratch_store_b128 off, v[250:253], off offset:48
	scratch_load_b128 v[12:15], off, off offset:48
	scratch_store_b128 off, v[0:3], off
	v_mul_f64 v[0:1], v[172:173], v[160:161]
	v_dual_mov_b32 v182, v2 :: v_dual_mov_b32 v183, v3
	s_delay_alu instid0(VALU_DEP_2) | instskip(NEXT) | instid1(VALU_DEP_1)
	v_fma_f64 v[0:1], v[168:169], v[156:157], v[0:1]
	v_fma_f64 v[0:1], v[170:171], v[158:159], v[0:1]
	s_waitcnt vmcnt(1)
	s_delay_alu instid0(VALU_DEP_1) | instskip(SKIP_1) | instid1(VALU_DEP_1)
	v_fma_f64 v[4:5], v[100:101], v[0:1], v[4:5]
	v_mul_f64 v[0:1], v[172:173], v[152:153]
	v_fma_f64 v[0:1], v[168:169], v[150:151], v[0:1]
	s_delay_alu instid0(VALU_DEP_1) | instskip(NEXT) | instid1(VALU_DEP_1)
	v_fma_f64 v[0:1], v[170:171], v[154:155], v[0:1]
	v_fma_f64 v[6:7], v[100:101], v[0:1], v[6:7]
	v_mul_f64 v[0:1], v[172:173], v[148:149]
	s_delay_alu instid0(VALU_DEP_1) | instskip(NEXT) | instid1(VALU_DEP_1)
	v_fma_f64 v[0:1], v[168:169], v[144:145], v[0:1]
	v_fma_f64 v[0:1], v[170:171], v[146:147], v[0:1]
	s_delay_alu instid0(VALU_DEP_1) | instskip(SKIP_1) | instid1(VALU_DEP_1)
	v_fma_f64 v[8:9], v[100:101], v[0:1], v[8:9]
	v_mul_f64 v[0:1], v[172:173], v[140:141]
	v_fma_f64 v[0:1], v[168:169], v[138:139], v[0:1]
	s_delay_alu instid0(VALU_DEP_1) | instskip(NEXT) | instid1(VALU_DEP_1)
	v_fma_f64 v[0:1], v[170:171], v[142:143], v[0:1]
	v_fma_f64 v[10:11], v[100:101], v[0:1], v[10:11]
	v_mul_f64 v[0:1], v[172:173], v[136:137]
	s_clause 0x1
	scratch_store_b128 off, v[4:7], off offset:16
	scratch_store_b128 off, v[8:11], off offset:32
	v_fma_f64 v[0:1], v[168:169], v[132:133], v[0:1]
	s_delay_alu instid0(VALU_DEP_1) | instskip(SKIP_1) | instid1(VALU_DEP_1)
	v_fma_f64 v[0:1], v[170:171], v[134:135], v[0:1]
	s_waitcnt vmcnt(0)
	v_fma_f64 v[12:13], v[100:101], v[0:1], v[12:13]
	v_mul_f64 v[0:1], v[172:173], v[128:129]
	s_delay_alu instid0(VALU_DEP_1) | instskip(NEXT) | instid1(VALU_DEP_1)
	v_fma_f64 v[0:1], v[168:169], v[126:127], v[0:1]
	v_fma_f64 v[0:1], v[170:171], v[130:131], v[0:1]
	s_delay_alu instid0(VALU_DEP_1) | instskip(SKIP_1) | instid1(VALU_DEP_1)
	v_fma_f64 v[14:15], v[100:101], v[0:1], v[14:15]
	v_mul_f64 v[0:1], v[172:173], v[124:125]
	v_fma_f64 v[0:1], v[168:169], v[120:121], v[0:1]
	s_delay_alu instid0(VALU_DEP_1) | instskip(NEXT) | instid1(VALU_DEP_1)
	v_fma_f64 v[0:1], v[170:171], v[122:123], v[0:1]
	v_fma_f64 v[174:175], v[100:101], v[0:1], v[174:175]
	v_mul_f64 v[0:1], v[172:173], v[116:117]
	s_delay_alu instid0(VALU_DEP_1) | instskip(NEXT) | instid1(VALU_DEP_1)
	v_fma_f64 v[0:1], v[168:169], v[114:115], v[0:1]
	v_fma_f64 v[0:1], v[170:171], v[118:119], v[0:1]
	s_delay_alu instid0(VALU_DEP_1)
	v_fma_f64 v[176:177], v[100:101], v[0:1], v[176:177]
	v_mul_f64 v[0:1], v[172:173], v[112:113]
	s_clause 0x1
	scratch_store_b128 off, v[12:15], off offset:48
	scratch_store_b128 off, v[174:177], off offset:64
	v_fma_f64 v[0:1], v[168:169], v[104:105], v[0:1]
	s_delay_alu instid0(VALU_DEP_1) | instskip(NEXT) | instid1(VALU_DEP_1)
	v_fma_f64 v[0:1], v[170:171], v[106:107], v[0:1]
	v_fma_f64 v[178:179], v[100:101], v[0:1], v[178:179]
	v_mul_f64 v[0:1], v[172:173], v[108:109]
	s_delay_alu instid0(VALU_DEP_1) | instskip(NEXT) | instid1(VALU_DEP_1)
	v_fma_f64 v[0:1], v[168:169], v[102:103], v[0:1]
	v_fma_f64 v[0:1], v[170:171], v[110:111], v[0:1]
	scratch_load_b128 v[168:171], off, off offset:104
	v_fma_f64 v[180:181], v[100:101], v[0:1], v[180:181]
	v_mul_f64 v[0:1], v[164:165], v[164:165]
	s_delay_alu instid0(VALU_DEP_1) | instskip(NEXT) | instid1(VALU_DEP_1)
	v_fma_f64 v[0:1], v[162:163], v[162:163], v[0:1]
	v_fma_f64 v[0:1], v[166:167], v[166:167], v[0:1]
	s_waitcnt vmcnt(0)
	s_delay_alu instid0(VALU_DEP_1)
	v_fma_f64 v[184:185], v[100:101], v[0:1], v[168:169]
	v_mul_f64 v[0:1], v[164:165], v[160:161]
	s_clause 0x1
	scratch_store_b128 off, v[178:181], off offset:80
	scratch_store_b128 off, v[182:185], off offset:96
	v_fma_f64 v[0:1], v[162:163], v[156:157], v[0:1]
	s_delay_alu instid0(VALU_DEP_1) | instskip(NEXT) | instid1(VALU_DEP_1)
	v_fma_f64 v[0:1], v[166:167], v[158:159], v[0:1]
	v_fma_f64 v[0:1], v[100:101], v[0:1], v[170:171]
	v_mov_b32_e32 v2, v4
	v_dual_mov_b32 v3, v5 :: v_dual_mov_b32 v4, v6
	s_delay_alu instid0(VALU_DEP_3) | instskip(NEXT) | instid1(VALU_DEP_4)
	v_dual_mov_b32 v5, v7 :: v_dual_mov_b32 v4, v0
	v_mov_b32_e32 v5, v1
	s_clause 0x1
	scratch_store_b128 off, v[218:221], off offset:464
	scratch_store_b128 off, v[2:5], off offset:192
	v_mul_f64 v[2:3], v[164:165], v[152:153]
	s_delay_alu instid0(VALU_DEP_1) | instskip(NEXT) | instid1(VALU_DEP_1)
	v_fma_f64 v[2:3], v[162:163], v[150:151], v[2:3]
	v_fma_f64 v[168:169], v[166:167], v[154:155], v[2:3]
	scratch_load_b128 v[2:5], off, off offset:120
	s_waitcnt vmcnt(0)
	v_fma_f64 v[2:3], v[100:101], v[168:169], v[2:3]
	s_clause 0x1
	scratch_store_b128 off, v[226:229], off offset:240
	scratch_store_b128 off, v[0:3], off offset:112
	v_dual_mov_b32 v0, v6 :: v_dual_mov_b32 v1, v7
	s_clause 0x1
	scratch_store_b128 off, v[202:205], off offset:656
	scratch_store_b128 off, v[0:3], off offset:288
	v_mul_f64 v[0:1], v[164:165], v[148:149]
	s_delay_alu instid0(VALU_DEP_1) | instskip(NEXT) | instid1(VALU_DEP_1)
	v_fma_f64 v[0:1], v[162:163], v[144:145], v[0:1]
	v_fma_f64 v[0:1], v[166:167], v[146:147], v[0:1]
	s_delay_alu instid0(VALU_DEP_1) | instskip(SKIP_2) | instid1(VALU_DEP_3)
	v_fma_f64 v[0:1], v[100:101], v[0:1], v[4:5]
	v_dual_mov_b32 v2, v8 :: v_dual_mov_b32 v3, v9
	v_dual_mov_b32 v4, v10 :: v_dual_mov_b32 v5, v11
	v_dual_mov_b32 v4, v0 :: v_dual_mov_b32 v5, v1
	scratch_store_b128 off, v[2:5], off offset:384
	v_mul_f64 v[2:3], v[164:165], v[140:141]
	s_delay_alu instid0(VALU_DEP_1) | instskip(NEXT) | instid1(VALU_DEP_1)
	v_fma_f64 v[2:3], v[162:163], v[138:139], v[2:3]
	v_fma_f64 v[6:7], v[166:167], v[142:143], v[2:3]
	scratch_load_b128 v[2:5], off, off offset:136
	s_waitcnt vmcnt(0)
	v_fma_f64 v[2:3], v[100:101], v[6:7], v[2:3]
	s_clause 0x1
	scratch_store_b128 off, v[230:233], off offset:256
	scratch_store_b128 off, v[0:3], off offset:128
	v_dual_mov_b32 v0, v10 :: v_dual_mov_b32 v1, v11
	scratch_store_b128 off, v[0:3], off offset:480
	v_mul_f64 v[0:1], v[164:165], v[136:137]
	s_delay_alu instid0(VALU_DEP_1) | instskip(NEXT) | instid1(VALU_DEP_1)
	v_fma_f64 v[0:1], v[162:163], v[132:133], v[0:1]
	v_fma_f64 v[0:1], v[166:167], v[134:135], v[0:1]
	s_delay_alu instid0(VALU_DEP_1) | instskip(SKIP_2) | instid1(VALU_DEP_3)
	v_fma_f64 v[0:1], v[100:101], v[0:1], v[4:5]
	v_dual_mov_b32 v2, v12 :: v_dual_mov_b32 v3, v13
	v_dual_mov_b32 v4, v14 :: v_dual_mov_b32 v5, v15
	v_dual_mov_b32 v4, v0 :: v_dual_mov_b32 v5, v1
	scratch_store_b128 off, v[2:5], off offset:576
	v_mul_f64 v[2:3], v[164:165], v[128:129]
	s_delay_alu instid0(VALU_DEP_1) | instskip(NEXT) | instid1(VALU_DEP_1)
	v_fma_f64 v[2:3], v[162:163], v[126:127], v[2:3]
	v_fma_f64 v[6:7], v[166:167], v[130:131], v[2:3]
	scratch_load_b128 v[2:5], off, off offset:152
	s_waitcnt vmcnt(0)
	v_fma_f64 v[2:3], v[100:101], v[6:7], v[2:3]
	s_clause 0x1
	scratch_store_b128 off, v[234:237], off offset:272
	scratch_store_b128 off, v[0:3], off offset:144
	v_dual_mov_b32 v0, v14 :: v_dual_mov_b32 v1, v15
	;; [unrolled: 22-line block ×3, first 2 shown]
	scratch_store_b128 off, v[0:3], off offset:864
	v_mul_f64 v[0:1], v[164:165], v[112:113]
	s_delay_alu instid0(VALU_DEP_1) | instskip(NEXT) | instid1(VALU_DEP_1)
	v_fma_f64 v[0:1], v[162:163], v[104:105], v[0:1]
	v_fma_f64 v[0:1], v[166:167], v[106:107], v[0:1]
	s_delay_alu instid0(VALU_DEP_1) | instskip(SKIP_2) | instid1(VALU_DEP_3)
	v_fma_f64 v[0:1], v[100:101], v[0:1], v[4:5]
	v_dual_mov_b32 v2, v178 :: v_dual_mov_b32 v3, v179
	v_dual_mov_b32 v4, v180 :: v_dual_mov_b32 v5, v181
	;; [unrolled: 1-line block ×3, first 2 shown]
	scratch_store_b128 off, v[2:5], off offset:960
	scratch_load_b64 v[4:5], off, off offset:184
	v_mul_f64 v[2:3], v[164:165], v[108:109]
	s_delay_alu instid0(VALU_DEP_1) | instskip(SKIP_3) | instid1(VALU_DEP_1)
	v_fma_f64 v[2:3], v[162:163], v[102:103], v[2:3]
	scratch_load_b128 v[162:165], off, off offset:272
	v_fma_f64 v[2:3], v[166:167], v[110:111], v[2:3]
	s_waitcnt vmcnt(1)
	v_fma_f64 v[2:3], v[100:101], v[2:3], v[4:5]
	s_clause 0x1
	scratch_store_b128 off, v[214:217], off offset:448
	scratch_store_b128 off, v[0:3], off offset:176
	v_dual_mov_b32 v0, v180 :: v_dual_mov_b32 v1, v181
	scratch_store_b128 off, v[0:3], off offset:1056
	scratch_load_b128 v[2:5], off, off offset:208
	v_mul_f64 v[0:1], v[160:161], v[160:161]
	s_delay_alu instid0(VALU_DEP_1) | instskip(NEXT) | instid1(VALU_DEP_1)
	v_fma_f64 v[0:1], v[156:157], v[156:157], v[0:1]
	v_fma_f64 v[0:1], v[158:159], v[158:159], v[0:1]
	s_waitcnt vmcnt(0)
	s_delay_alu instid0(VALU_DEP_1) | instskip(SKIP_1) | instid1(VALU_DEP_1)
	v_fma_f64 v[2:3], v[100:101], v[0:1], v[2:3]
	v_mul_f64 v[0:1], v[160:161], v[152:153]
	v_fma_f64 v[0:1], v[156:157], v[150:151], v[0:1]
	s_delay_alu instid0(VALU_DEP_1) | instskip(NEXT) | instid1(VALU_DEP_1)
	v_fma_f64 v[0:1], v[158:159], v[154:155], v[0:1]
	v_fma_f64 v[4:5], v[100:101], v[0:1], v[4:5]
	v_mul_f64 v[0:1], v[160:161], v[148:149]
	s_clause 0x1
	scratch_store_b128 off, v[222:225], off offset:512
	scratch_store_b128 off, v[2:5], off offset:208
	v_fma_f64 v[0:1], v[156:157], v[144:145], v[0:1]
	v_dual_mov_b32 v166, v4 :: v_dual_mov_b32 v167, v5
	v_mul_f64 v[4:5], v[152:153], v[148:149]
	s_delay_alu instid0(VALU_DEP_3) | instskip(SKIP_2) | instid1(VALU_DEP_1)
	v_fma_f64 v[6:7], v[158:159], v[146:147], v[0:1]
	scratch_load_b128 v[0:3], off, off offset:224
	v_fma_f64 v[4:5], v[150:151], v[144:145], v[4:5]
	v_fma_f64 v[4:5], v[154:155], v[146:147], v[4:5]
	s_waitcnt vmcnt(0)
	v_fma_f64 v[0:1], v[100:101], v[6:7], v[0:1]
	v_mul_f64 v[6:7], v[160:161], v[140:141]
	s_delay_alu instid0(VALU_DEP_1) | instskip(NEXT) | instid1(VALU_DEP_1)
	v_fma_f64 v[6:7], v[156:157], v[138:139], v[6:7]
	v_fma_f64 v[6:7], v[158:159], v[142:143], v[6:7]
	s_delay_alu instid0(VALU_DEP_1) | instskip(SKIP_1) | instid1(VALU_DEP_1)
	v_fma_f64 v[2:3], v[100:101], v[6:7], v[2:3]
	v_mul_f64 v[6:7], v[160:161], v[136:137]
	v_fma_f64 v[6:7], v[156:157], v[132:133], v[6:7]
	s_delay_alu instid0(VALU_DEP_1) | instskip(SKIP_4) | instid1(VALU_DEP_1)
	v_fma_f64 v[10:11], v[158:159], v[134:135], v[6:7]
	scratch_load_b128 v[6:9], off, off offset:240
	s_waitcnt vmcnt(0)
	v_fma_f64 v[6:7], v[100:101], v[10:11], v[6:7]
	v_mul_f64 v[10:11], v[160:161], v[128:129]
	v_fma_f64 v[10:11], v[156:157], v[126:127], v[10:11]
	s_delay_alu instid0(VALU_DEP_1) | instskip(NEXT) | instid1(VALU_DEP_1)
	v_fma_f64 v[10:11], v[158:159], v[130:131], v[10:11]
	v_fma_f64 v[8:9], v[100:101], v[10:11], v[8:9]
	v_mul_f64 v[10:11], v[160:161], v[124:125]
	s_clause 0x1
	scratch_store_b128 off, v[0:3], off offset:224
	scratch_store_b128 off, v[6:9], off offset:240
	v_fma_f64 v[10:11], v[156:157], v[120:121], v[10:11]
	s_delay_alu instid0(VALU_DEP_1) | instskip(SKIP_4) | instid1(VALU_DEP_1)
	v_fma_f64 v[14:15], v[158:159], v[122:123], v[10:11]
	scratch_load_b128 v[10:13], off, off offset:256
	s_waitcnt vmcnt(0)
	v_fma_f64 v[10:11], v[100:101], v[14:15], v[10:11]
	v_mul_f64 v[14:15], v[160:161], v[116:117]
	v_fma_f64 v[14:15], v[156:157], v[114:115], v[14:15]
	s_delay_alu instid0(VALU_DEP_1) | instskip(NEXT) | instid1(VALU_DEP_1)
	v_fma_f64 v[14:15], v[158:159], v[118:119], v[14:15]
	v_fma_f64 v[12:13], v[100:101], v[14:15], v[12:13]
	v_mul_f64 v[14:15], v[160:161], v[112:113]
	s_delay_alu instid0(VALU_DEP_1) | instskip(NEXT) | instid1(VALU_DEP_1)
	v_fma_f64 v[14:15], v[156:157], v[104:105], v[14:15]
	v_fma_f64 v[14:15], v[158:159], v[106:107], v[14:15]
	s_delay_alu instid0(VALU_DEP_1) | instskip(SKIP_1) | instid1(VALU_DEP_1)
	v_fma_f64 v[162:163], v[100:101], v[14:15], v[162:163]
	v_mul_f64 v[14:15], v[160:161], v[108:109]
	v_fma_f64 v[14:15], v[156:157], v[102:103], v[14:15]
	s_delay_alu instid0(VALU_DEP_1)
	v_fma_f64 v[14:15], v[158:159], v[110:111], v[14:15]
	scratch_load_b128 v[156:159], off, off offset:312
	v_fma_f64 v[164:165], v[100:101], v[14:15], v[164:165]
	v_mul_f64 v[14:15], v[152:153], v[152:153]
	s_clause 0x1
	scratch_store_b128 off, v[10:13], off offset:256
	scratch_store_b128 off, v[162:165], off offset:272
	v_fma_f64 v[14:15], v[150:151], v[150:151], v[14:15]
	s_delay_alu instid0(VALU_DEP_1) | instskip(SKIP_1) | instid1(VALU_DEP_1)
	v_fma_f64 v[14:15], v[154:155], v[154:155], v[14:15]
	s_waitcnt vmcnt(0)
	v_fma_f64 v[168:169], v[100:101], v[14:15], v[156:157]
	v_fma_f64 v[156:157], v[100:101], v[4:5], v[158:159]
	v_dual_mov_b32 v161, v3 :: v_dual_mov_b32 v160, v2
	v_dual_mov_b32 v159, v1 :: v_dual_mov_b32 v158, v0
	v_mul_f64 v[0:1], v[152:153], v[140:141]
	s_delay_alu instid0(VALU_DEP_4) | instskip(NEXT) | instid1(VALU_DEP_2)
	v_dual_mov_b32 v160, v156 :: v_dual_mov_b32 v161, v157
	v_fma_f64 v[0:1], v[150:151], v[138:139], v[0:1]
	scratch_store_b128 off, v[158:161], off offset:400
	scratch_load_b128 v[158:161], off, off offset:328
	v_fma_f64 v[0:1], v[154:155], v[142:143], v[0:1]
	s_waitcnt vmcnt(0)
	s_delay_alu instid0(VALU_DEP_1)
	v_fma_f64 v[158:159], v[100:101], v[0:1], v[158:159]
	v_mul_f64 v[0:1], v[152:153], v[136:137]
	s_clause 0x1
	scratch_store_b128 off, v[166:169], off offset:304
	scratch_store_b128 off, v[156:159], off offset:320
	v_fma_f64 v[0:1], v[150:151], v[132:133], v[0:1]
	v_dual_mov_b32 v156, v2 :: v_dual_mov_b32 v157, v3
	v_dual_mov_b32 v2, v6 :: v_dual_mov_b32 v3, v7
	v_dual_mov_b32 v4, v8 :: v_dual_mov_b32 v5, v9
	s_delay_alu instid0(VALU_DEP_4) | instskip(NEXT) | instid1(VALU_DEP_1)
	v_fma_f64 v[0:1], v[154:155], v[134:135], v[0:1]
	v_fma_f64 v[0:1], v[100:101], v[0:1], v[160:161]
	s_delay_alu instid0(VALU_DEP_1) | instskip(SKIP_2) | instid1(VALU_DEP_1)
	v_dual_mov_b32 v4, v0 :: v_dual_mov_b32 v5, v1
	scratch_store_b128 off, v[2:5], off offset:592
	v_mul_f64 v[2:3], v[152:153], v[128:129]
	v_fma_f64 v[2:3], v[150:151], v[126:127], v[2:3]
	s_delay_alu instid0(VALU_DEP_1)
	v_fma_f64 v[6:7], v[154:155], v[130:131], v[2:3]
	scratch_load_b128 v[2:5], off, off offset:344
	s_waitcnt vmcnt(0)
	v_fma_f64 v[2:3], v[100:101], v[6:7], v[2:3]
	s_clause 0x1
	scratch_store_b128 off, v[156:159], off offset:496
	scratch_store_b128 off, v[0:3], off offset:336
	v_dual_mov_b32 v0, v8 :: v_dual_mov_b32 v1, v9
	scratch_store_b128 off, v[0:3], off offset:688
	v_mul_f64 v[0:1], v[152:153], v[124:125]
	s_delay_alu instid0(VALU_DEP_1) | instskip(NEXT) | instid1(VALU_DEP_1)
	v_fma_f64 v[0:1], v[150:151], v[120:121], v[0:1]
	v_fma_f64 v[0:1], v[154:155], v[122:123], v[0:1]
	s_delay_alu instid0(VALU_DEP_1)
	v_fma_f64 v[0:1], v[100:101], v[0:1], v[4:5]
	v_dual_mov_b32 v2, v10 :: v_dual_mov_b32 v3, v11
	v_dual_mov_b32 v4, v12 :: v_dual_mov_b32 v5, v13
	scratch_load_b128 v[8:11], off, off offset:448
	v_dual_mov_b32 v4, v0 :: v_dual_mov_b32 v5, v1
	scratch_store_b128 off, v[2:5], off offset:784
	v_mul_f64 v[2:3], v[152:153], v[116:117]
	s_delay_alu instid0(VALU_DEP_1) | instskip(NEXT) | instid1(VALU_DEP_1)
	v_fma_f64 v[2:3], v[150:151], v[114:115], v[2:3]
	v_fma_f64 v[6:7], v[154:155], v[118:119], v[2:3]
	scratch_load_b128 v[2:5], off, off offset:360
	s_waitcnt vmcnt(0)
	v_fma_f64 v[2:3], v[100:101], v[6:7], v[2:3]
	s_clause 0x1
	scratch_store_b128 off, v[206:209], off offset:720
	scratch_store_b128 off, v[0:3], off offset:352
	v_dual_mov_b32 v0, v12 :: v_dual_mov_b32 v1, v13
	scratch_load_b128 v[12:15], off, off offset:464
	scratch_store_b128 off, v[0:3], off offset:880
	v_mul_f64 v[0:1], v[152:153], v[112:113]
	s_delay_alu instid0(VALU_DEP_1) | instskip(NEXT) | instid1(VALU_DEP_1)
	v_fma_f64 v[0:1], v[150:151], v[104:105], v[0:1]
	v_fma_f64 v[0:1], v[154:155], v[106:107], v[0:1]
	s_delay_alu instid0(VALU_DEP_1) | instskip(SKIP_2) | instid1(VALU_DEP_3)
	v_fma_f64 v[0:1], v[100:101], v[0:1], v[4:5]
	v_dual_mov_b32 v2, v162 :: v_dual_mov_b32 v3, v163
	v_dual_mov_b32 v4, v164 :: v_dual_mov_b32 v5, v165
	;; [unrolled: 1-line block ×3, first 2 shown]
	scratch_store_b128 off, v[2:5], off offset:976
	scratch_load_b64 v[4:5], off, off offset:376
	v_mul_f64 v[2:3], v[152:153], v[108:109]
	s_delay_alu instid0(VALU_DEP_1) | instskip(NEXT) | instid1(VALU_DEP_1)
	v_fma_f64 v[2:3], v[150:151], v[102:103], v[2:3]
	v_fma_f64 v[2:3], v[154:155], v[110:111], v[2:3]
	s_waitcnt vmcnt(0)
	s_delay_alu instid0(VALU_DEP_1)
	v_fma_f64 v[2:3], v[100:101], v[2:3], v[4:5]
	s_clause 0x1
	scratch_store_b128 off, v[188:191], off offset:928
	scratch_store_b128 off, v[0:3], off offset:368
	v_dual_mov_b32 v0, v164 :: v_dual_mov_b32 v1, v165
	scratch_store_b128 off, v[0:3], off offset:1072
	v_mul_f64 v[0:1], v[148:149], v[148:149]
	s_delay_alu instid0(VALU_DEP_1) | instskip(NEXT) | instid1(VALU_DEP_1)
	v_fma_f64 v[0:1], v[144:145], v[144:145], v[0:1]
	v_fma_f64 v[4:5], v[146:147], v[146:147], v[0:1]
	scratch_load_b128 v[0:3], off, off offset:416
	s_waitcnt vmcnt(0)
	v_fma_f64 v[0:1], v[100:101], v[4:5], v[0:1]
	v_mul_f64 v[4:5], v[148:149], v[140:141]
	s_delay_alu instid0(VALU_DEP_1) | instskip(NEXT) | instid1(VALU_DEP_1)
	v_fma_f64 v[4:5], v[144:145], v[138:139], v[4:5]
	v_fma_f64 v[4:5], v[146:147], v[142:143], v[4:5]
	s_delay_alu instid0(VALU_DEP_1) | instskip(SKIP_3) | instid1(VALU_DEP_1)
	v_fma_f64 v[2:3], v[100:101], v[4:5], v[2:3]
	scratch_load_b128 v[4:7], off, off offset:432
	scratch_store_b128 off, v[0:3], off offset:416
	v_mul_f64 v[0:1], v[148:149], v[136:137]
	v_fma_f64 v[0:1], v[144:145], v[132:133], v[0:1]
	s_delay_alu instid0(VALU_DEP_1) | instskip(SKIP_1) | instid1(VALU_DEP_1)
	v_fma_f64 v[0:1], v[146:147], v[134:135], v[0:1]
	s_waitcnt vmcnt(0)
	v_fma_f64 v[4:5], v[100:101], v[0:1], v[4:5]
	v_mul_f64 v[0:1], v[148:149], v[128:129]
	s_delay_alu instid0(VALU_DEP_1) | instskip(NEXT) | instid1(VALU_DEP_1)
	v_fma_f64 v[0:1], v[144:145], v[126:127], v[0:1]
	v_fma_f64 v[0:1], v[146:147], v[130:131], v[0:1]
	s_delay_alu instid0(VALU_DEP_1) | instskip(SKIP_1) | instid1(VALU_DEP_1)
	v_fma_f64 v[6:7], v[100:101], v[0:1], v[6:7]
	v_mul_f64 v[0:1], v[148:149], v[124:125]
	v_fma_f64 v[0:1], v[144:145], v[120:121], v[0:1]
	s_delay_alu instid0(VALU_DEP_1) | instskip(NEXT) | instid1(VALU_DEP_1)
	v_fma_f64 v[0:1], v[146:147], v[122:123], v[0:1]
	v_fma_f64 v[8:9], v[100:101], v[0:1], v[8:9]
	v_mul_f64 v[0:1], v[148:149], v[116:117]
	s_delay_alu instid0(VALU_DEP_1) | instskip(NEXT) | instid1(VALU_DEP_1)
	v_fma_f64 v[0:1], v[144:145], v[114:115], v[0:1]
	v_fma_f64 v[0:1], v[146:147], v[118:119], v[0:1]
	s_delay_alu instid0(VALU_DEP_1)
	v_fma_f64 v[10:11], v[100:101], v[0:1], v[10:11]
	v_mul_f64 v[0:1], v[148:149], v[112:113]
	s_clause 0x1
	scratch_store_b128 off, v[4:7], off offset:432
	scratch_store_b128 off, v[8:11], off offset:448
	v_fma_f64 v[0:1], v[144:145], v[104:105], v[0:1]
	s_delay_alu instid0(VALU_DEP_1) | instskip(NEXT) | instid1(VALU_DEP_1)
	v_fma_f64 v[0:1], v[146:147], v[106:107], v[0:1]
	v_fma_f64 v[12:13], v[100:101], v[0:1], v[12:13]
	v_mul_f64 v[0:1], v[148:149], v[108:109]
	v_dual_mov_b32 v148, v2 :: v_dual_mov_b32 v149, v3
	s_delay_alu instid0(VALU_DEP_2) | instskip(NEXT) | instid1(VALU_DEP_1)
	v_fma_f64 v[0:1], v[144:145], v[102:103], v[0:1]
	v_fma_f64 v[0:1], v[146:147], v[110:111], v[0:1]
	scratch_load_b128 v[144:147], off, off offset:520
	v_fma_f64 v[14:15], v[100:101], v[0:1], v[14:15]
	v_mul_f64 v[0:1], v[140:141], v[140:141]
	s_delay_alu instid0(VALU_DEP_1) | instskip(NEXT) | instid1(VALU_DEP_1)
	v_fma_f64 v[0:1], v[138:139], v[138:139], v[0:1]
	v_fma_f64 v[0:1], v[142:143], v[142:143], v[0:1]
	s_waitcnt vmcnt(0)
	s_delay_alu instid0(VALU_DEP_1)
	v_fma_f64 v[150:151], v[100:101], v[0:1], v[144:145]
	v_mul_f64 v[0:1], v[140:141], v[136:137]
	s_clause 0x1
	scratch_store_b128 off, v[12:15], off offset:464
	scratch_store_b128 off, v[148:151], off offset:512
	v_fma_f64 v[0:1], v[138:139], v[132:133], v[0:1]
	s_delay_alu instid0(VALU_DEP_1) | instskip(NEXT) | instid1(VALU_DEP_1)
	v_fma_f64 v[0:1], v[142:143], v[134:135], v[0:1]
	v_fma_f64 v[0:1], v[100:101], v[0:1], v[146:147]
	v_mov_b32_e32 v2, v4
	v_dual_mov_b32 v3, v5 :: v_dual_mov_b32 v4, v6
	s_delay_alu instid0(VALU_DEP_3) | instskip(NEXT) | instid1(VALU_DEP_4)
	v_dual_mov_b32 v5, v7 :: v_dual_mov_b32 v4, v0
	v_mov_b32_e32 v5, v1
	scratch_store_b128 off, v[2:5], off offset:608
	v_mul_f64 v[2:3], v[140:141], v[128:129]
	s_delay_alu instid0(VALU_DEP_1) | instskip(NEXT) | instid1(VALU_DEP_1)
	v_fma_f64 v[2:3], v[138:139], v[126:127], v[2:3]
	v_fma_f64 v[144:145], v[142:143], v[130:131], v[2:3]
	scratch_load_b128 v[2:5], off, off offset:536
	s_waitcnt vmcnt(0)
	v_fma_f64 v[2:3], v[100:101], v[144:145], v[2:3]
	scratch_store_b128 off, v[0:3], off offset:528
	v_dual_mov_b32 v0, v6 :: v_dual_mov_b32 v1, v7
	scratch_store_b128 off, v[0:3], off offset:704
	v_mul_f64 v[0:1], v[140:141], v[124:125]
	s_delay_alu instid0(VALU_DEP_1) | instskip(NEXT) | instid1(VALU_DEP_1)
	v_fma_f64 v[0:1], v[138:139], v[120:121], v[0:1]
	v_fma_f64 v[0:1], v[142:143], v[122:123], v[0:1]
	s_delay_alu instid0(VALU_DEP_1) | instskip(SKIP_2) | instid1(VALU_DEP_3)
	v_fma_f64 v[0:1], v[100:101], v[0:1], v[4:5]
	v_dual_mov_b32 v2, v8 :: v_dual_mov_b32 v3, v9
	v_dual_mov_b32 v4, v10 :: v_dual_mov_b32 v5, v11
	;; [unrolled: 1-line block ×3, first 2 shown]
	scratch_store_b128 off, v[2:5], off offset:800
	v_mul_f64 v[2:3], v[140:141], v[116:117]
	s_delay_alu instid0(VALU_DEP_1) | instskip(NEXT) | instid1(VALU_DEP_1)
	v_fma_f64 v[2:3], v[138:139], v[114:115], v[2:3]
	v_fma_f64 v[6:7], v[142:143], v[118:119], v[2:3]
	scratch_load_b128 v[2:5], off, off offset:552
	s_waitcnt vmcnt(0)
	v_fma_f64 v[2:3], v[100:101], v[6:7], v[2:3]
	scratch_store_b128 off, v[0:3], off offset:544
	v_dual_mov_b32 v0, v10 :: v_dual_mov_b32 v1, v11
	scratch_load_b128 v[8:11], off, off offset:656
	scratch_store_b128 off, v[0:3], off offset:896
	v_mul_f64 v[0:1], v[140:141], v[112:113]
	s_delay_alu instid0(VALU_DEP_1) | instskip(NEXT) | instid1(VALU_DEP_1)
	v_fma_f64 v[0:1], v[138:139], v[104:105], v[0:1]
	v_fma_f64 v[0:1], v[142:143], v[106:107], v[0:1]
	s_delay_alu instid0(VALU_DEP_1) | instskip(SKIP_2) | instid1(VALU_DEP_3)
	v_fma_f64 v[0:1], v[100:101], v[0:1], v[4:5]
	v_dual_mov_b32 v2, v12 :: v_dual_mov_b32 v3, v13
	v_dual_mov_b32 v4, v14 :: v_dual_mov_b32 v5, v15
	;; [unrolled: 1-line block ×3, first 2 shown]
	scratch_store_b128 off, v[2:5], off offset:992
	scratch_load_b64 v[4:5], off, off offset:568
	v_mul_f64 v[2:3], v[140:141], v[108:109]
	s_delay_alu instid0(VALU_DEP_1) | instskip(NEXT) | instid1(VALU_DEP_1)
	v_fma_f64 v[2:3], v[138:139], v[102:103], v[2:3]
	v_fma_f64 v[2:3], v[142:143], v[110:111], v[2:3]
	s_waitcnt vmcnt(0)
	s_delay_alu instid0(VALU_DEP_1)
	v_fma_f64 v[2:3], v[100:101], v[2:3], v[4:5]
	scratch_store_b128 off, v[0:3], off offset:560
	v_dual_mov_b32 v0, v14 :: v_dual_mov_b32 v1, v15
	scratch_load_b128 v[12:15], off, off offset:728
	scratch_store_b128 off, v[0:3], off offset:1088
	v_mul_f64 v[0:1], v[136:137], v[136:137]
	s_delay_alu instid0(VALU_DEP_1) | instskip(NEXT) | instid1(VALU_DEP_1)
	v_fma_f64 v[0:1], v[132:133], v[132:133], v[0:1]
	v_fma_f64 v[4:5], v[134:135], v[134:135], v[0:1]
	scratch_load_b128 v[0:3], off, off offset:624
	s_waitcnt vmcnt(0)
	v_fma_f64 v[0:1], v[100:101], v[4:5], v[0:1]
	v_mul_f64 v[4:5], v[136:137], v[128:129]
	s_delay_alu instid0(VALU_DEP_1) | instskip(NEXT) | instid1(VALU_DEP_1)
	v_fma_f64 v[4:5], v[132:133], v[126:127], v[4:5]
	v_fma_f64 v[4:5], v[134:135], v[130:131], v[4:5]
	s_delay_alu instid0(VALU_DEP_1) | instskip(SKIP_3) | instid1(VALU_DEP_1)
	v_fma_f64 v[2:3], v[100:101], v[4:5], v[2:3]
	scratch_load_b128 v[4:7], off, off offset:640
	scratch_store_b128 off, v[0:3], off offset:624
	v_mul_f64 v[0:1], v[136:137], v[124:125]
	v_fma_f64 v[0:1], v[132:133], v[120:121], v[0:1]
	s_delay_alu instid0(VALU_DEP_1) | instskip(SKIP_1) | instid1(VALU_DEP_1)
	v_fma_f64 v[0:1], v[134:135], v[122:123], v[0:1]
	s_waitcnt vmcnt(0)
	v_fma_f64 v[4:5], v[100:101], v[0:1], v[4:5]
	v_mul_f64 v[0:1], v[136:137], v[116:117]
	s_delay_alu instid0(VALU_DEP_1) | instskip(NEXT) | instid1(VALU_DEP_1)
	v_fma_f64 v[0:1], v[132:133], v[114:115], v[0:1]
	v_fma_f64 v[0:1], v[134:135], v[118:119], v[0:1]
	s_delay_alu instid0(VALU_DEP_1) | instskip(SKIP_1) | instid1(VALU_DEP_1)
	v_fma_f64 v[6:7], v[100:101], v[0:1], v[6:7]
	v_mul_f64 v[0:1], v[136:137], v[112:113]
	v_fma_f64 v[0:1], v[132:133], v[104:105], v[0:1]
	s_delay_alu instid0(VALU_DEP_1) | instskip(NEXT) | instid1(VALU_DEP_1)
	v_fma_f64 v[0:1], v[134:135], v[106:107], v[0:1]
	v_fma_f64 v[8:9], v[100:101], v[0:1], v[8:9]
	v_mul_f64 v[0:1], v[136:137], v[108:109]
	s_delay_alu instid0(VALU_DEP_1) | instskip(SKIP_1) | instid1(VALU_DEP_2)
	v_fma_f64 v[0:1], v[132:133], v[102:103], v[0:1]
	v_dual_mov_b32 v132, v2 :: v_dual_mov_b32 v133, v3
	v_fma_f64 v[0:1], v[134:135], v[110:111], v[0:1]
	s_delay_alu instid0(VALU_DEP_1)
	v_fma_f64 v[10:11], v[100:101], v[0:1], v[10:11]
	v_mul_f64 v[0:1], v[128:129], v[128:129]
	s_clause 0x1
	scratch_store_b128 off, v[4:7], off offset:640
	scratch_store_b128 off, v[8:11], off offset:656
	v_fma_f64 v[0:1], v[126:127], v[126:127], v[0:1]
	s_delay_alu instid0(VALU_DEP_1) | instskip(NEXT) | instid1(VALU_DEP_1)
	v_fma_f64 v[0:1], v[130:131], v[130:131], v[0:1]
	v_fma_f64 v[134:135], v[100:101], v[0:1], v[12:13]
	v_mul_f64 v[0:1], v[128:129], v[124:125]
	s_delay_alu instid0(VALU_DEP_1) | instskip(NEXT) | instid1(VALU_DEP_1)
	v_fma_f64 v[0:1], v[126:127], v[120:121], v[0:1]
	v_fma_f64 v[0:1], v[130:131], v[122:123], v[0:1]
	s_delay_alu instid0(VALU_DEP_1) | instskip(SKIP_2) | instid1(VALU_DEP_3)
	v_fma_f64 v[0:1], v[100:101], v[0:1], v[14:15]
	v_mov_b32_e32 v2, v4
	v_dual_mov_b32 v3, v5 :: v_dual_mov_b32 v4, v6
	v_dual_mov_b32 v5, v7 :: v_dual_mov_b32 v4, v0
	s_delay_alu instid0(VALU_DEP_4) | instskip(SKIP_2) | instid1(VALU_DEP_1)
	v_mov_b32_e32 v5, v1
	scratch_store_b128 off, v[2:5], off offset:816
	v_mul_f64 v[2:3], v[128:129], v[116:117]
	v_fma_f64 v[2:3], v[126:127], v[114:115], v[2:3]
	s_delay_alu instid0(VALU_DEP_1)
	v_fma_f64 v[12:13], v[130:131], v[118:119], v[2:3]
	scratch_load_b128 v[2:5], off, off offset:744
	s_waitcnt vmcnt(0)
	v_fma_f64 v[2:3], v[100:101], v[12:13], v[2:3]
	s_clause 0x1
	scratch_store_b128 off, v[132:135], off offset:720
	scratch_store_b128 off, v[0:3], off offset:736
	v_dual_mov_b32 v0, v6 :: v_dual_mov_b32 v1, v7
	scratch_store_b128 off, v[0:3], off offset:912
	v_mul_f64 v[0:1], v[128:129], v[112:113]
	s_delay_alu instid0(VALU_DEP_1) | instskip(NEXT) | instid1(VALU_DEP_1)
	v_fma_f64 v[0:1], v[126:127], v[104:105], v[0:1]
	v_fma_f64 v[0:1], v[130:131], v[106:107], v[0:1]
	s_delay_alu instid0(VALU_DEP_1) | instskip(SKIP_2) | instid1(VALU_DEP_3)
	v_fma_f64 v[0:1], v[100:101], v[0:1], v[4:5]
	v_dual_mov_b32 v2, v8 :: v_dual_mov_b32 v3, v9
	v_dual_mov_b32 v4, v10 :: v_dual_mov_b32 v5, v11
	;; [unrolled: 1-line block ×3, first 2 shown]
	scratch_store_b128 off, v[2:5], off offset:1008
	scratch_load_b64 v[4:5], off, off offset:760
	v_mul_f64 v[2:3], v[128:129], v[108:109]
	s_delay_alu instid0(VALU_DEP_1) | instskip(NEXT) | instid1(VALU_DEP_1)
	v_fma_f64 v[2:3], v[126:127], v[102:103], v[2:3]
	v_fma_f64 v[2:3], v[130:131], v[110:111], v[2:3]
	s_waitcnt vmcnt(0)
	s_delay_alu instid0(VALU_DEP_1)
	v_fma_f64 v[2:3], v[100:101], v[2:3], v[4:5]
	scratch_store_b128 off, v[0:3], off offset:752
	v_dual_mov_b32 v0, v10 :: v_dual_mov_b32 v1, v11
	scratch_load_b128 v[8:11], off, off offset:936
	scratch_store_b128 off, v[0:3], off offset:1104
	v_mul_f64 v[0:1], v[124:125], v[124:125]
	s_delay_alu instid0(VALU_DEP_1) | instskip(NEXT) | instid1(VALU_DEP_1)
	v_fma_f64 v[0:1], v[120:121], v[120:121], v[0:1]
	v_fma_f64 v[4:5], v[122:123], v[122:123], v[0:1]
	scratch_load_b128 v[0:3], off, off offset:832
	s_waitcnt vmcnt(0)
	v_fma_f64 v[0:1], v[100:101], v[4:5], v[0:1]
	v_mul_f64 v[4:5], v[124:125], v[116:117]
	s_delay_alu instid0(VALU_DEP_1) | instskip(NEXT) | instid1(VALU_DEP_1)
	v_fma_f64 v[4:5], v[120:121], v[114:115], v[4:5]
	v_fma_f64 v[4:5], v[122:123], v[118:119], v[4:5]
	s_delay_alu instid0(VALU_DEP_1) | instskip(SKIP_4) | instid1(VALU_DEP_2)
	v_fma_f64 v[2:3], v[100:101], v[4:5], v[2:3]
	scratch_load_b128 v[4:7], off, off offset:848
	scratch_store_b128 off, v[0:3], off offset:832
	v_mul_f64 v[0:1], v[124:125], v[112:113]
	v_dual_mov_b32 v12, v2 :: v_dual_mov_b32 v13, v3
	v_fma_f64 v[0:1], v[120:121], v[104:105], v[0:1]
	s_delay_alu instid0(VALU_DEP_1) | instskip(SKIP_1) | instid1(VALU_DEP_1)
	v_fma_f64 v[0:1], v[122:123], v[106:107], v[0:1]
	s_waitcnt vmcnt(0)
	v_fma_f64 v[4:5], v[100:101], v[0:1], v[4:5]
	v_mul_f64 v[0:1], v[124:125], v[108:109]
	s_delay_alu instid0(VALU_DEP_1) | instskip(NEXT) | instid1(VALU_DEP_1)
	v_fma_f64 v[0:1], v[120:121], v[102:103], v[0:1]
	v_fma_f64 v[0:1], v[122:123], v[110:111], v[0:1]
	s_delay_alu instid0(VALU_DEP_1) | instskip(SKIP_1) | instid1(VALU_DEP_1)
	v_fma_f64 v[6:7], v[100:101], v[0:1], v[6:7]
	v_mul_f64 v[0:1], v[116:117], v[116:117]
	v_fma_f64 v[0:1], v[114:115], v[114:115], v[0:1]
	s_delay_alu instid0(VALU_DEP_1) | instskip(NEXT) | instid1(VALU_DEP_1)
	v_fma_f64 v[0:1], v[118:119], v[118:119], v[0:1]
	v_fma_f64 v[14:15], v[100:101], v[0:1], v[8:9]
	v_mul_f64 v[0:1], v[116:117], v[112:113]
	s_clause 0x1
	scratch_store_b128 off, v[4:7], off offset:848
	scratch_store_b128 off, v[12:15], off offset:928
	v_fma_f64 v[0:1], v[114:115], v[104:105], v[0:1]
	s_delay_alu instid0(VALU_DEP_1) | instskip(NEXT) | instid1(VALU_DEP_1)
	v_fma_f64 v[0:1], v[118:119], v[106:107], v[0:1]
	v_fma_f64 v[0:1], v[100:101], v[0:1], v[10:11]
	v_mov_b32_e32 v2, v4
	v_dual_mov_b32 v3, v5 :: v_dual_mov_b32 v4, v6
	s_delay_alu instid0(VALU_DEP_3) | instskip(NEXT) | instid1(VALU_DEP_4)
	v_dual_mov_b32 v5, v7 :: v_dual_mov_b32 v4, v0
	v_mov_b32_e32 v5, v1
	scratch_store_b128 off, v[2:5], off offset:1024
	scratch_load_b64 v[4:5], off, off offset:952
	v_mul_f64 v[2:3], v[116:117], v[108:109]
	s_delay_alu instid0(VALU_DEP_1) | instskip(NEXT) | instid1(VALU_DEP_1)
	v_fma_f64 v[2:3], v[114:115], v[102:103], v[2:3]
	v_fma_f64 v[2:3], v[118:119], v[110:111], v[2:3]
	s_waitcnt vmcnt(0)
	s_delay_alu instid0(VALU_DEP_1) | instskip(SKIP_4) | instid1(VALU_DEP_1)
	v_fma_f64 v[2:3], v[100:101], v[2:3], v[4:5]
	scratch_store_b128 off, v[0:3], off offset:944
	v_dual_mov_b32 v0, v6 :: v_dual_mov_b32 v1, v7
	scratch_store_b128 off, v[0:3], off offset:1120
	v_mul_f64 v[0:1], v[112:113], v[112:113]
	v_fma_f64 v[0:1], v[104:105], v[104:105], v[0:1]
	s_delay_alu instid0(VALU_DEP_1) | instskip(SKIP_4) | instid1(VALU_DEP_1)
	v_fma_f64 v[4:5], v[106:107], v[106:107], v[0:1]
	scratch_load_b128 v[0:3], off, off offset:1040
	s_waitcnt vmcnt(0)
	v_fma_f64 v[0:1], v[100:101], v[4:5], v[0:1]
	v_mul_f64 v[4:5], v[112:113], v[108:109]
	v_fma_f64 v[4:5], v[104:105], v[102:103], v[4:5]
	s_delay_alu instid0(VALU_DEP_1) | instskip(NEXT) | instid1(VALU_DEP_1)
	v_fma_f64 v[4:5], v[106:107], v[110:111], v[4:5]
	v_fma_f64 v[2:3], v[100:101], v[4:5], v[2:3]
	scratch_load_b64 v[4:5], off, off offset:1144
	scratch_store_b128 off, v[0:3], off offset:1040
	v_mul_f64 v[0:1], v[108:109], v[108:109]
	s_delay_alu instid0(VALU_DEP_1) | instskip(NEXT) | instid1(VALU_DEP_1)
	v_fma_f64 v[0:1], v[102:103], v[102:103], v[0:1]
	v_fma_f64 v[0:1], v[110:111], v[110:111], v[0:1]
	s_waitcnt vmcnt(0)
	s_delay_alu instid0(VALU_DEP_1)
	v_fma_f64 v[4:5], v[100:101], v[0:1], v[4:5]
	scratch_store_b128 off, v[2:5], off offset:1136
	s_cbranch_vccz .LBB0_4
; %bb.5:                                ;   in Loop: Header=BB0_3 Depth=2
	s_and_b32 vcc_lo, exec_lo, s14
	s_mov_b32 s8, 0
	s_cbranch_vccz .LBB0_3
; %bb.6:                                ;   in Loop: Header=BB0_2 Depth=1
	s_mov_b32 s21, 1
	s_and_not1_b32 vcc_lo, exec_lo, s13
	s_mov_b32 s0, 0
	s_cbranch_vccnz .LBB0_2
; %bb.7:
	v_mov_b32_e32 v0, 0
	v_dual_mov_b32 v1, 0 :: v_dual_mov_b32 v2, 0
.LBB0_8:                                ; =>This Inner Loop Header: Depth=1
	s_add_i32 s1, s0, 0
	scratch_load_b128 v[3:6], off, s1
	v_readfirstlane_b32 s1, v2
	s_delay_alu instid0(VALU_DEP_1)
	s_add_i32 s1, s1, s0
	s_addk_i32 s0, 0xc0
	s_add_i32 s2, s1, 0x60
	scratch_load_b128 v[7:10], off, s2
	s_add_i32 s2, s1, 16
	scratch_load_b128 v[11:14], off, s2
	;; [unrolled: 2-line block ×9, first 2 shown]
	s_add_i32 s2, s1, 0x50
	s_addk_i32 s1, 0xb0
	s_cmpk_lg_i32 s0, 0x480
	s_waitcnt vmcnt(9)
	v_add_f64 v[3:4], v[3:4], 0
	s_waitcnt vmcnt(8)
	v_add_f64 v[7:8], v[7:8], 0
	s_delay_alu instid0(VALU_DEP_2)
	v_add_f64 v[43:44], v[3:4], v[5:6]
	scratch_load_b128 v[3:6], off, s2
	v_add_f64 v[45:46], v[7:8], v[9:10]
	scratch_load_b128 v[7:10], off, s1
	s_waitcnt vmcnt(9)
	v_add_f64 v[11:12], v[43:44], v[11:12]
	s_waitcnt vmcnt(8)
	v_add_f64 v[15:16], v[45:46], v[15:16]
	s_delay_alu instid0(VALU_DEP_2) | instskip(NEXT) | instid1(VALU_DEP_2)
	v_add_f64 v[11:12], v[11:12], v[13:14]
	v_add_f64 v[13:14], v[15:16], v[17:18]
	s_waitcnt vmcnt(7)
	s_delay_alu instid0(VALU_DEP_2) | instskip(SKIP_1) | instid1(VALU_DEP_2)
	v_add_f64 v[11:12], v[11:12], v[19:20]
	s_waitcnt vmcnt(6)
	v_add_f64 v[13:14], v[13:14], v[23:24]
	s_delay_alu instid0(VALU_DEP_2) | instskip(NEXT) | instid1(VALU_DEP_2)
	v_add_f64 v[11:12], v[11:12], v[21:22]
	v_add_f64 v[13:14], v[13:14], v[25:26]
	s_waitcnt vmcnt(5)
	s_delay_alu instid0(VALU_DEP_2) | instskip(SKIP_1) | instid1(VALU_DEP_2)
	v_add_f64 v[11:12], v[11:12], v[27:28]
	s_waitcnt vmcnt(4)
	v_add_f64 v[13:14], v[13:14], v[31:32]
	s_delay_alu instid0(VALU_DEP_2) | instskip(NEXT) | instid1(VALU_DEP_2)
	v_add_f64 v[11:12], v[11:12], v[29:30]
	v_add_f64 v[13:14], v[13:14], v[33:34]
	s_waitcnt vmcnt(3)
	s_delay_alu instid0(VALU_DEP_2) | instskip(SKIP_1) | instid1(VALU_DEP_2)
	v_add_f64 v[11:12], v[11:12], v[35:36]
	s_waitcnt vmcnt(2)
	v_add_f64 v[13:14], v[13:14], v[39:40]
	s_delay_alu instid0(VALU_DEP_2) | instskip(NEXT) | instid1(VALU_DEP_2)
	v_add_f64 v[11:12], v[11:12], v[37:38]
	v_add_f64 v[13:14], v[13:14], v[41:42]
	s_waitcnt vmcnt(1)
	s_delay_alu instid0(VALU_DEP_2) | instskip(SKIP_1) | instid1(VALU_DEP_2)
	v_add_f64 v[3:4], v[11:12], v[3:4]
	s_waitcnt vmcnt(0)
	v_add_f64 v[7:8], v[13:14], v[7:8]
	s_delay_alu instid0(VALU_DEP_2) | instskip(NEXT) | instid1(VALU_DEP_2)
	v_add_f64 v[3:4], v[3:4], v[5:6]
	v_add_f64 v[5:6], v[7:8], v[9:10]
	s_delay_alu instid0(VALU_DEP_2) | instskip(NEXT) | instid1(VALU_DEP_1)
	v_add_f64 v[0:1], v[0:1], v[3:4]
	v_add_f64 v[0:1], v[0:1], v[5:6]
	s_cbranch_scc1 .LBB0_8
; %bb.9:
	scratch_load_b64 v[2:3], off, off offset:1176 ; 8-byte Folded Reload
	s_waitcnt vmcnt(0)
	v_add_co_u32 v2, vcc_lo, s4, v2
	v_add_co_ci_u32_e32 v3, vcc_lo, s5, v3, vcc_lo
	global_store_b64 v[2:3], v[0:1], off
.LBB0_10:
	s_endpgm
	.section	.rodata,"a",@progbits
	.p2align	6, 0x0
	.amdhsa_kernel _ZN8rajaperf4apps6edge3dILm256EEEvPdS2_S2_S2_S2_S2_S2_S2_S2_S2_S2_S2_S2_S2_S2_S2_S2_S2_S2_S2_S2_S2_S2_S2_S2_ll
		.amdhsa_group_segment_fixed_size 0
		.amdhsa_private_segment_fixed_size 1200
		.amdhsa_kernarg_size 216
		.amdhsa_user_sgpr_count 15
		.amdhsa_user_sgpr_dispatch_ptr 0
		.amdhsa_user_sgpr_queue_ptr 0
		.amdhsa_user_sgpr_kernarg_segment_ptr 1
		.amdhsa_user_sgpr_dispatch_id 0
		.amdhsa_user_sgpr_private_segment_size 0
		.amdhsa_wavefront_size32 1
		.amdhsa_uses_dynamic_stack 0
		.amdhsa_enable_private_segment 1
		.amdhsa_system_sgpr_workgroup_id_x 1
		.amdhsa_system_sgpr_workgroup_id_y 0
		.amdhsa_system_sgpr_workgroup_id_z 0
		.amdhsa_system_sgpr_workgroup_info 0
		.amdhsa_system_vgpr_workitem_id 0
		.amdhsa_next_free_vgpr 256
		.amdhsa_next_free_sgpr 68
		.amdhsa_reserve_vcc 1
		.amdhsa_float_round_mode_32 0
		.amdhsa_float_round_mode_16_64 0
		.amdhsa_float_denorm_mode_32 3
		.amdhsa_float_denorm_mode_16_64 3
		.amdhsa_dx10_clamp 1
		.amdhsa_ieee_mode 1
		.amdhsa_fp16_overflow 0
		.amdhsa_workgroup_processor_mode 1
		.amdhsa_memory_ordered 1
		.amdhsa_forward_progress 0
		.amdhsa_shared_vgpr_count 0
		.amdhsa_exception_fp_ieee_invalid_op 0
		.amdhsa_exception_fp_denorm_src 0
		.amdhsa_exception_fp_ieee_div_zero 0
		.amdhsa_exception_fp_ieee_overflow 0
		.amdhsa_exception_fp_ieee_underflow 0
		.amdhsa_exception_fp_ieee_inexact 0
		.amdhsa_exception_int_div_zero 0
	.end_amdhsa_kernel
	.section	.text._ZN8rajaperf4apps6edge3dILm256EEEvPdS2_S2_S2_S2_S2_S2_S2_S2_S2_S2_S2_S2_S2_S2_S2_S2_S2_S2_S2_S2_S2_S2_S2_S2_ll,"axG",@progbits,_ZN8rajaperf4apps6edge3dILm256EEEvPdS2_S2_S2_S2_S2_S2_S2_S2_S2_S2_S2_S2_S2_S2_S2_S2_S2_S2_S2_S2_S2_S2_S2_S2_ll,comdat
.Lfunc_end0:
	.size	_ZN8rajaperf4apps6edge3dILm256EEEvPdS2_S2_S2_S2_S2_S2_S2_S2_S2_S2_S2_S2_S2_S2_S2_S2_S2_S2_S2_S2_S2_S2_S2_S2_ll, .Lfunc_end0-_ZN8rajaperf4apps6edge3dILm256EEEvPdS2_S2_S2_S2_S2_S2_S2_S2_S2_S2_S2_S2_S2_S2_S2_S2_S2_S2_S2_S2_S2_S2_S2_S2_ll
                                        ; -- End function
	.section	.AMDGPU.csdata,"",@progbits
; Kernel info:
; codeLenInByte = 13740
; NumSgprs: 70
; NumVgprs: 256
; ScratchSize: 1200
; MemoryBound: 0
; FloatMode: 240
; IeeeMode: 1
; LDSByteSize: 0 bytes/workgroup (compile time only)
; SGPRBlocks: 8
; VGPRBlocks: 31
; NumSGPRsForWavesPerEU: 70
; NumVGPRsForWavesPerEU: 256
; Occupancy: 5
; WaveLimiterHint : 1
; COMPUTE_PGM_RSRC2:SCRATCH_EN: 1
; COMPUTE_PGM_RSRC2:USER_SGPR: 15
; COMPUTE_PGM_RSRC2:TRAP_HANDLER: 0
; COMPUTE_PGM_RSRC2:TGID_X_EN: 1
; COMPUTE_PGM_RSRC2:TGID_Y_EN: 0
; COMPUTE_PGM_RSRC2:TGID_Z_EN: 0
; COMPUTE_PGM_RSRC2:TIDIG_COMP_CNT: 0
	.section	.text._ZN8rajaperf17lambda_hip_forallILm256EZNS_4apps6EDGE3D17runHipVariantImplILm256EEEvNS_9VariantIDEEUllE_EEvllT0_,"axG",@progbits,_ZN8rajaperf17lambda_hip_forallILm256EZNS_4apps6EDGE3D17runHipVariantImplILm256EEEvNS_9VariantIDEEUllE_EEvllT0_,comdat
	.protected	_ZN8rajaperf17lambda_hip_forallILm256EZNS_4apps6EDGE3D17runHipVariantImplILm256EEEvNS_9VariantIDEEUllE_EEvllT0_ ; -- Begin function _ZN8rajaperf17lambda_hip_forallILm256EZNS_4apps6EDGE3D17runHipVariantImplILm256EEEvNS_9VariantIDEEUllE_EEvllT0_
	.globl	_ZN8rajaperf17lambda_hip_forallILm256EZNS_4apps6EDGE3D17runHipVariantImplILm256EEEvNS_9VariantIDEEUllE_EEvllT0_
	.p2align	8
	.type	_ZN8rajaperf17lambda_hip_forallILm256EZNS_4apps6EDGE3D17runHipVariantImplILm256EEEvNS_9VariantIDEEUllE_EEvllT0_,@function
_ZN8rajaperf17lambda_hip_forallILm256EZNS_4apps6EDGE3D17runHipVariantImplILm256EEEvNS_9VariantIDEEUllE_EEvllT0_: ; @_ZN8rajaperf17lambda_hip_forallILm256EZNS_4apps6EDGE3D17runHipVariantImplILm256EEEvNS_9VariantIDEEUllE_EEvllT0_
; %bb.0:
	s_load_b128 s[4:7], s[0:1], 0x0
	s_mov_b32 s20, s15
	s_mov_b32 s21, 0
	s_delay_alu instid0(SALU_CYCLE_1) | instskip(SKIP_4) | instid1(VALU_DEP_1)
	s_lshl_b64 s[2:3], s[20:21], 8
	s_waitcnt lgkmcnt(0)
	s_add_u32 s2, s2, s4
	s_addc_u32 s3, s3, s5
	v_add_co_u32 v0, s2, s2, v0
	v_add_co_ci_u32_e64 v1, null, s3, 0, s2
	s_mov_b32 s2, exec_lo
	s_delay_alu instid0(VALU_DEP_1)
	v_cmpx_gt_i64_e64 s[6:7], v[0:1]
	s_cbranch_execz .LBB1_10
; %bb.1:
	s_load_b512 s[44:59], s[0:1], 0x10
	v_lshlrev_b64 v[22:23], 3, v[0:1]
	s_load_b512 s[4:19], s[0:1], 0x90
	s_mov_b32 s20, s21
	s_mov_b32 s22, s21
	;; [unrolled: 1-line block ×3, first 2 shown]
	v_dual_mov_b32 v95, s21 :: v_dual_mov_b32 v94, s20
	s_load_b64 s[2:3], s[0:1], 0xd0
	s_waitcnt lgkmcnt(0)
	v_add_co_u32 v0, vcc_lo, s44, v22
	v_add_co_ci_u32_e32 v1, vcc_lo, s45, v23, vcc_lo
	v_add_co_u32 v2, vcc_lo, s46, v22
	v_add_co_ci_u32_e32 v3, vcc_lo, s47, v23, vcc_lo
	;; [unrolled: 2-line block ×4, first 2 shown]
	s_load_b512 s[36:51], s[0:1], 0x50
	global_load_b64 v[8:9], v[0:1], off
	global_load_b64 v[10:11], v[2:3], off
	;; [unrolled: 1-line block ×4, first 2 shown]
	v_add_co_u32 v0, vcc_lo, s52, v22
	v_add_co_ci_u32_e32 v1, vcc_lo, s53, v23, vcc_lo
	v_add_co_u32 v2, vcc_lo, s54, v22
	v_add_co_ci_u32_e32 v3, vcc_lo, s55, v23, vcc_lo
	;; [unrolled: 2-line block ×4, first 2 shown]
	s_mov_b32 s0, -1
	s_waitcnt lgkmcnt(0)
	v_add_co_u32 v16, vcc_lo, s36, v22
	v_add_co_ci_u32_e32 v17, vcc_lo, s37, v23, vcc_lo
	global_load_b64 v[54:55], v[0:1], off
	global_load_b64 v[58:59], v[2:3], off
	global_load_b64 v[12:13], v[12:13], off
	global_load_b64 v[14:15], v[14:15], off
	global_load_b64 v[62:63], v[16:17], off
	v_add_co_u32 v0, vcc_lo, s38, v22
	v_add_co_ci_u32_e32 v1, vcc_lo, s39, v23, vcc_lo
	v_add_co_u32 v2, vcc_lo, s40, v22
	v_add_co_ci_u32_e32 v3, vcc_lo, s41, v23, vcc_lo
	v_add_co_u32 v16, vcc_lo, s42, v22
	v_add_co_ci_u32_e32 v17, vcc_lo, s43, v23, vcc_lo
	v_add_co_u32 v18, vcc_lo, s44, v22
	v_add_co_ci_u32_e32 v19, vcc_lo, s45, v23, vcc_lo
	v_add_co_u32 v20, vcc_lo, s46, v22
	v_add_co_ci_u32_e32 v21, vcc_lo, s47, v23, vcc_lo
	global_load_b64 v[66:67], v[0:1], off
	global_load_b64 v[68:69], v[2:3], off
	global_load_b64 v[64:65], v[16:17], off
	global_load_b64 v[70:71], v[18:19], off
	global_load_b64 v[72:73], v[20:21], off
	v_add_co_u32 v0, vcc_lo, s48, v22
	v_add_co_ci_u32_e32 v1, vcc_lo, s49, v23, vcc_lo
	v_add_co_u32 v2, vcc_lo, s50, v22
	v_add_co_ci_u32_e32 v3, vcc_lo, s51, v23, vcc_lo
	v_add_co_u32 v16, vcc_lo, s4, v22
	v_add_co_ci_u32_e32 v17, vcc_lo, s5, v23, vcc_lo
	v_add_co_u32 v18, vcc_lo, s6, v22
	v_add_co_ci_u32_e32 v19, vcc_lo, s7, v23, vcc_lo
	;; [unrolled: 15-line block ×3, first 2 shown]
	v_add_co_u32 v20, vcc_lo, s18, v22
	scratch_store_b64 off, v[22:23], off offset:1176 ; 8-byte Folded Spill
	v_add_co_ci_u32_e32 v21, vcc_lo, s19, v23, vcc_lo
	global_load_b64 v[84:85], v[0:1], off
	global_load_b64 v[86:87], v[2:3], off
	;; [unrolled: 1-line block ×5, first 2 shown]
	v_dual_mov_b32 v0, s20 :: v_dual_mov_b32 v1, s21
	v_dual_mov_b32 v2, s22 :: v_dual_mov_b32 v3, s23
	s_clause 0xb
	scratch_store_b128 off, v[0:3], off
	scratch_store_b128 off, v[0:3], off offset:16
	scratch_store_b128 off, v[0:3], off offset:32
	;; [unrolled: 1-line block ×10, first 2 shown]
	scratch_store_b64 off, v[94:95], off offset:184
	s_mov_b32 s8, 0x74df99c7
	s_mov_b32 s9, 0x3fcb0cb1
	;; [unrolled: 1-line block ×6, first 2 shown]
	s_mov_b64 s[10:11], s[8:9]
	s_waitcnt vmcnt(22)
	v_add_f64 v[34:35], v[10:11], -v[8:9]
	s_waitcnt vmcnt(21)
	v_add_f64 v[50:51], v[4:5], -v[10:11]
	;; [unrolled: 2-line block ×3, first 2 shown]
	v_add_f64 v[46:47], v[6:7], -v[8:9]
	s_waitcnt vmcnt(19)
	v_add_f64 v[16:17], v[54:55], -v[8:9]
	s_waitcnt vmcnt(18)
	v_add_f64 v[38:39], v[58:59], -v[54:55]
	s_waitcnt vmcnt(16)
	v_add_f64 v[40:41], v[12:13], -v[14:15]
	v_add_f64 v[54:55], v[14:15], -v[54:55]
	s_waitcnt vmcnt(14)
	v_add_f64 v[42:43], v[66:67], -v[62:63]
	s_waitcnt vmcnt(12)
	;; [unrolled: 2-line block ×4, first 2 shown]
	v_add_f64 v[20:21], v[72:73], -v[66:67]
	v_add_f64 v[48:49], v[72:73], -v[70:71]
	;; [unrolled: 1-line block ×4, first 2 shown]
	scratch_store_b64 off, v[16:17], off offset:1152 ; 8-byte Folded Spill
	v_add_f64 v[16:17], v[58:59], -v[10:11]
	v_add_f64 v[58:59], v[12:13], -v[58:59]
	s_waitcnt vmcnt(9)
	v_add_f64 v[22:23], v[74:75], -v[68:69]
	s_waitcnt vmcnt(8)
	v_add_f64 v[24:25], v[76:77], -v[64:65]
	v_add_f64 v[52:53], v[74:75], -v[76:77]
	s_waitcnt vmcnt(6)
	v_add_f64 v[56:57], v[80:81], -v[78:79]
	v_add_f64 v[70:71], v[76:77], -v[70:71]
	;; [unrolled: 1-line block ×3, first 2 shown]
	s_waitcnt vmcnt(5)
	v_add_f64 v[76:77], v[82:83], -v[80:81]
	s_waitcnt vmcnt(4)
	v_add_f64 v[60:61], v[82:83], -v[84:85]
	s_waitcnt vmcnt(3)
	v_add_f64 v[26:27], v[86:87], -v[78:79]
	s_waitcnt vmcnt(2)
	v_add_f64 v[28:29], v[88:89], -v[80:81]
	s_waitcnt vmcnt(1)
	v_add_f64 v[30:31], v[90:91], -v[82:83]
	s_waitcnt vmcnt(0)
	v_add_f64 v[32:33], v[92:93], -v[84:85]
	v_add_f64 v[64:65], v[88:89], -v[86:87]
	v_add_f64 v[68:69], v[90:91], -v[92:93]
	;; [unrolled: 1-line block ×5, first 2 shown]
	scratch_store_b64 off, v[16:17], off offset:1160 ; 8-byte Folded Spill
	v_add_f64 v[16:17], v[12:13], -v[4:5]
	scratch_store_b64 off, v[16:17], off offset:1168 ; 8-byte Folded Spill
	v_add_f64 v[16:17], v[14:15], -v[6:7]
	s_clause 0x1d
	scratch_store_b128 off, v[0:3], off offset:208
	scratch_store_b128 off, v[0:3], off offset:224
	;; [unrolled: 1-line block ×9, first 2 shown]
	scratch_store_b64 off, v[94:95], off offset:376
	scratch_store_b128 off, v[0:3], off offset:416
	scratch_store_b128 off, v[0:3], off offset:432
	;; [unrolled: 1-line block ×7, first 2 shown]
	scratch_store_b64 off, v[94:95], off offset:568
	scratch_store_b128 off, v[0:3], off offset:624
	scratch_store_b128 off, v[0:3], off offset:640
	;; [unrolled: 1-line block ×5, first 2 shown]
	scratch_store_b64 off, v[94:95], off offset:760
	scratch_store_b128 off, v[0:3], off offset:832
	scratch_store_b128 off, v[0:3], off offset:848
	;; [unrolled: 1-line block ×3, first 2 shown]
	scratch_store_b64 off, v[94:95], off offset:952
	scratch_store_b128 off, v[0:3], off offset:1040
	scratch_store_b64 off, v[94:95], off offset:1144
.LBB1_2:                                ; =>This Loop Header: Depth=1
                                        ;     Child Loop BB1_3 Depth 2
                                        ;       Child Loop BB1_4 Depth 3
	v_add_f64 v[82:83], -s[10:11], 1.0
	s_xor_b32 s1, s0, -1
	s_mov_b32 s0, -1
	s_mov_b64 s[12:13], s[8:9]
.LBB1_3:                                ;   Parent Loop BB1_2 Depth=1
                                        ; =>  This Loop Header: Depth=2
                                        ;       Child Loop BB1_4 Depth 3
	s_clause 0x1
	scratch_load_b64 v[0:1], off, off offset:1160
	scratch_load_b64 v[6:7], off, off offset:1152
	v_add_f64 v[84:85], -s[12:13], 1.0
	v_mul_f64 v[90:91], s[10:11], s[12:13]
	v_mul_f64 v[92:93], v[82:83], s[12:13]
	s_mov_b32 s17, -1
	s_xor_b32 s16, s0, -1
	s_mov_b64 s[14:15], s[8:9]
	s_delay_alu instid0(VALU_DEP_3) | instskip(SKIP_1) | instid1(VALU_DEP_2)
	v_mul_f64 v[86:87], s[10:11], v[84:85]
	v_mul_f64 v[88:89], v[82:83], v[84:85]
	v_mul_f64 v[2:3], v[20:21], v[86:87]
	v_mul_f64 v[4:5], v[28:29], v[86:87]
	s_delay_alu instid0(VALU_DEP_2) | instskip(NEXT) | instid1(VALU_DEP_2)
	v_fma_f64 v[2:3], v[18:19], v[88:89], v[2:3]
	v_fma_f64 v[4:5], v[26:27], v[88:89], v[4:5]
	s_delay_alu instid0(VALU_DEP_2) | instskip(NEXT) | instid1(VALU_DEP_2)
	v_fma_f64 v[2:3], v[22:23], v[90:91], v[2:3]
	v_fma_f64 v[4:5], v[30:31], v[90:91], v[4:5]
	;; [unrolled: 3-line block ×3, first 2 shown]
	s_waitcnt vmcnt(1)
	v_mul_f64 v[0:1], v[0:1], v[86:87]
	s_waitcnt vmcnt(0)
	s_delay_alu instid0(VALU_DEP_1) | instskip(SKIP_3) | instid1(VALU_DEP_1)
	v_fma_f64 v[0:1], v[6:7], v[88:89], v[0:1]
	scratch_load_b64 v[6:7], off, off offset:1168 ; 8-byte Folded Reload
	s_waitcnt vmcnt(0)
	v_fma_f64 v[0:1], v[6:7], v[90:91], v[0:1]
	v_fma_f64 v[94:95], v[16:17], v[92:93], v[0:1]
.LBB1_4:                                ;   Parent Loop BB1_2 Depth=1
                                        ;     Parent Loop BB1_3 Depth=2
                                        ; =>    This Inner Loop Header: Depth=3
	v_add_f64 v[8:9], -s[14:15], 1.0
	v_cndmask_b32_e64 v0, 0, 1, s17
	v_mul_f64 v[10:11], v[84:85], s[14:15]
	v_mul_f64 v[12:13], v[82:83], s[14:15]
	;; [unrolled: 1-line block ×4, first 2 shown]
	v_cmp_ne_u32_e64 s0, 1, v0
	s_mov_b32 s17, 0
	v_mul_f64 v[0:1], v[82:83], v[8:9]
	v_mul_f64 v[14:15], s[12:13], v[8:9]
	v_mul_f64 v[2:3], v[84:85], v[8:9]
	v_mul_f64 v[100:101], s[10:11], v[8:9]
	s_delay_alu instid0(VALU_DEP_4) | instskip(NEXT) | instid1(VALU_DEP_4)
	v_mul_f64 v[110:111], v[62:63], v[0:1]
	v_mul_f64 v[106:107], v[60:61], v[14:15]
	;; [unrolled: 1-line block ×6, first 2 shown]
	v_fma_f64 v[110:111], v[66:67], v[100:101], v[110:111]
	v_fma_f64 v[106:107], v[56:57], v[2:3], v[106:107]
	;; [unrolled: 1-line block ×18, first 2 shown]
	v_mul_f64 v[130:131], v[94:95], v[110:111]
	v_mul_f64 v[116:117], v[110:111], v[106:107]
	;; [unrolled: 1-line block ×6, first 2 shown]
	v_fma_f64 v[130:131], v[96:97], v[108:109], -v[130:131]
	v_mul_f64 v[118:119], v[94:95], v[116:117]
	v_fma_f64 v[116:117], v[104:105], v[112:113], -v[116:117]
	s_delay_alu instid0(VALU_DEP_4) | instskip(NEXT) | instid1(VALU_DEP_3)
	v_fma_f64 v[132:133], v[94:95], v[104:105], -v[132:133]
	v_fma_f64 v[114:115], v[94:95], v[114:115], -v[118:119]
	v_mul_f64 v[118:119], v[108:109], v[106:107]
	s_delay_alu instid0(VALU_DEP_1) | instskip(SKIP_1) | instid1(VALU_DEP_1)
	v_fma_f64 v[114:115], v[96:97], v[118:119], v[114:115]
	v_mul_f64 v[118:119], v[102:103], v[112:113]
	v_fma_f64 v[114:115], -v[96:97], v[118:119], v[114:115]
	v_fma_f64 v[118:119], v[108:109], v[106:107], -v[118:119]
	s_delay_alu instid0(VALU_DEP_2) | instskip(SKIP_1) | instid1(VALU_DEP_2)
	v_fma_f64 v[114:115], -v[98:99], v[120:121], v[114:115]
	v_fma_f64 v[120:121], v[102:103], v[110:111], -v[120:121]
	v_fma_f64 v[238:239], v[98:99], v[122:123], v[114:115]
	s_delay_alu instid0(VALU_DEP_1) | instskip(NEXT) | instid1(VALU_DEP_1)
	v_add_f64 v[114:115], v[238:239], s[4:5]
	v_div_scale_f64 v[122:123], null, v[114:115], v[114:115], 1.0
	s_delay_alu instid0(VALU_DEP_1) | instskip(SKIP_2) | instid1(VALU_DEP_1)
	v_rcp_f64_e32 v[124:125], v[122:123]
	s_waitcnt_depctr 0xfff
	v_fma_f64 v[126:127], -v[122:123], v[124:125], 1.0
	v_fma_f64 v[124:125], v[124:125], v[126:127], v[124:125]
	s_delay_alu instid0(VALU_DEP_1) | instskip(NEXT) | instid1(VALU_DEP_1)
	v_fma_f64 v[126:127], -v[122:123], v[124:125], 1.0
	v_fma_f64 v[124:125], v[124:125], v[126:127], v[124:125]
	v_div_scale_f64 v[126:127], vcc_lo, 1.0, v[114:115], 1.0
	s_delay_alu instid0(VALU_DEP_1) | instskip(NEXT) | instid1(VALU_DEP_1)
	v_mul_f64 v[128:129], v[126:127], v[124:125]
	v_fma_f64 v[122:123], -v[122:123], v[128:129], v[126:127]
	v_mul_f64 v[126:127], v[98:99], v[108:109]
	s_delay_alu instid0(VALU_DEP_2) | instskip(SKIP_2) | instid1(VALU_DEP_4)
	v_div_fmas_f64 v[122:123], v[122:123], v[124:125], v[128:129]
	v_mul_f64 v[124:125], v[98:99], v[104:105]
	v_mul_f64 v[128:129], v[94:95], v[106:107]
	v_fma_f64 v[126:127], v[94:95], v[112:113], -v[126:127]
	s_delay_alu instid0(VALU_DEP_4) | instskip(SKIP_3) | instid1(VALU_DEP_4)
	v_div_fixup_f64 v[114:115], v[122:123], v[114:115], 1.0
	v_mul_f64 v[122:123], v[96:97], v[112:113]
	v_fma_f64 v[124:125], v[96:97], v[106:107], -v[124:125]
	v_fma_f64 v[128:129], v[98:99], v[102:103], -v[128:129]
	v_mul_f64 v[116:117], v[116:117], v[114:115]
	s_delay_alu instid0(VALU_DEP_4) | instskip(NEXT) | instid1(VALU_DEP_4)
	v_fma_f64 v[122:123], v[98:99], v[110:111], -v[122:123]
	v_mul_f64 v[124:125], v[124:125], v[114:115]
	s_delay_alu instid0(VALU_DEP_4)
	v_mul_f64 v[128:129], v[128:129], v[114:115]
	v_mul_f64 v[126:127], v[126:127], v[114:115]
	;; [unrolled: 1-line block ×8, first 2 shown]
	v_add_f64 v[120:121], |v[238:239]|, s[4:5]
	s_delay_alu instid0(VALU_DEP_3) | instskip(NEXT) | instid1(VALU_DEP_1)
	v_fma_f64 v[136:137], v[2:3], v[122:123], v[134:135]
	v_fma_f64 v[232:233], v[116:117], 0, v[136:137]
	v_mul_f64 v[136:137], v[128:129], 0
	s_delay_alu instid0(VALU_DEP_1) | instskip(NEXT) | instid1(VALU_DEP_1)
	v_fma_f64 v[138:139], v[2:3], v[126:127], v[136:137]
	v_fma_f64 v[234:235], v[118:119], 0, v[138:139]
	v_mul_f64 v[138:139], v[132:133], 0
	s_delay_alu instid0(VALU_DEP_1) | instskip(NEXT) | instid1(VALU_DEP_1)
	v_fma_f64 v[2:3], v[2:3], v[130:131], v[138:139]
	v_fma_f64 v[236:237], v[114:115], 0, v[2:3]
	v_fma_f64 v[2:3], v[14:15], v[122:123], v[134:135]
	s_delay_alu instid0(VALU_DEP_1) | instskip(SKIP_1) | instid1(VALU_DEP_1)
	v_fma_f64 v[226:227], v[116:117], 0, v[2:3]
	v_fma_f64 v[2:3], v[14:15], v[126:127], v[136:137]
	v_fma_f64 v[228:229], v[118:119], 0, v[2:3]
	v_fma_f64 v[2:3], v[14:15], v[130:131], v[138:139]
	s_delay_alu instid0(VALU_DEP_1) | instskip(SKIP_1) | instid1(VALU_DEP_1)
	v_fma_f64 v[230:231], v[114:115], 0, v[2:3]
	;; [unrolled: 5-line block ×5, first 2 shown]
	v_mul_f64 v[2:3], v[122:123], 0
	v_fma_f64 v[6:7], v[0:1], v[124:125], v[2:3]
	s_delay_alu instid0(VALU_DEP_1) | instskip(SKIP_1) | instid1(VALU_DEP_1)
	v_fma_f64 v[208:209], v[116:117], 0, v[6:7]
	v_mul_f64 v[6:7], v[126:127], 0
	v_fma_f64 v[10:11], v[0:1], v[128:129], v[6:7]
	s_delay_alu instid0(VALU_DEP_1) | instskip(SKIP_1) | instid1(VALU_DEP_1)
	v_fma_f64 v[212:213], v[118:119], 0, v[10:11]
	;; [unrolled: 4-line block ×3, first 2 shown]
	v_fma_f64 v[0:1], v[100:101], v[124:125], v[2:3]
	v_fma_f64 v[202:203], v[116:117], 0, v[0:1]
	;; [unrolled: 1-line block ×3, first 2 shown]
	s_delay_alu instid0(VALU_DEP_1) | instskip(SKIP_1) | instid1(VALU_DEP_1)
	v_fma_f64 v[204:205], v[118:119], 0, v[0:1]
	v_fma_f64 v[0:1], v[100:101], v[132:133], v[10:11]
	;; [unrolled: 1-line block ×4, first 2 shown]
	s_delay_alu instid0(VALU_DEP_1) | instskip(SKIP_1) | instid1(VALU_DEP_1)
	v_fma_f64 v[196:197], v[116:117], 0, v[0:1]
	v_fma_f64 v[0:1], v[12:13], v[128:129], v[6:7]
	;; [unrolled: 1-line block ×4, first 2 shown]
	s_delay_alu instid0(VALU_DEP_1) | instskip(SKIP_2) | instid1(VALU_DEP_2)
	v_fma_f64 v[198:199], v[114:115], 0, v[0:1]
	v_fma_f64 v[0:1], v[4:5], v[124:125], v[2:3]
	;; [unrolled: 1-line block ×5, first 2 shown]
	s_delay_alu instid0(VALU_DEP_3) | instskip(SKIP_2) | instid1(VALU_DEP_4)
	v_fma_f64 v[188:189], v[88:89], v[118:119], v[2:3]
	v_fma_f64 v[182:183], v[86:87], v[118:119], v[2:3]
	;; [unrolled: 1-line block ×7, first 2 shown]
	s_delay_alu instid0(VALU_DEP_3) | instskip(NEXT) | instid1(VALU_DEP_3)
	v_fma_f64 v[194:195], v[114:115], 0, v[0:1]
	v_fma_f64 v[186:187], v[88:89], v[114:115], v[10:11]
	;; [unrolled: 1-line block ×5, first 2 shown]
	v_div_scale_f64 v[10:11], null, v[120:121], v[120:121], 1.0
	v_fma_f64 v[0:1], v[122:123], 0, v[134:135]
	s_delay_alu instid0(VALU_DEP_2) | instskip(NEXT) | instid1(VALU_DEP_1)
	v_rcp_f64_e32 v[12:13], v[10:11]
	v_fma_f64 v[184:185], v[88:89], v[116:117], v[0:1]
	v_fma_f64 v[178:179], v[86:87], v[116:117], v[0:1]
	;; [unrolled: 1-line block ×4, first 2 shown]
	s_waitcnt_depctr 0xfff
	v_fma_f64 v[14:15], -v[10:11], v[12:13], 1.0
	s_delay_alu instid0(VALU_DEP_1) | instskip(NEXT) | instid1(VALU_DEP_1)
	v_fma_f64 v[12:13], v[12:13], v[14:15], v[12:13]
	v_fma_f64 v[14:15], -v[10:11], v[12:13], 1.0
	s_delay_alu instid0(VALU_DEP_1) | instskip(SKIP_1) | instid1(VALU_DEP_1)
	v_fma_f64 v[12:13], v[12:13], v[14:15], v[12:13]
	v_div_scale_f64 v[14:15], vcc_lo, 1.0, v[120:121], 1.0
	v_mul_f64 v[100:101], v[14:15], v[12:13]
	s_delay_alu instid0(VALU_DEP_1) | instskip(NEXT) | instid1(VALU_DEP_1)
	v_fma_f64 v[10:11], -v[10:11], v[100:101], v[14:15]
	v_div_fmas_f64 v[10:11], v[10:11], v[12:13], v[100:101]
	s_and_b32 vcc_lo, exec_lo, s0
	s_delay_alu instid0(VALU_DEP_1) | instskip(NEXT) | instid1(VALU_DEP_1)
	v_div_fixup_f64 v[10:11], v[10:11], v[120:121], 1.0
	v_mul_f64 v[12:13], v[102:103], v[10:11]
	v_mul_f64 v[14:15], v[108:109], v[10:11]
	;; [unrolled: 1-line block ×10, first 2 shown]
	v_mul_f64 v[112:113], v[14:15], -v[84:85]
	v_mul_f64 v[244:245], v[14:15], -s[12:13]
	v_mul_f64 v[252:253], s[12:13], v[14:15]
	v_mul_f64 v[116:117], v[102:103], -v[84:85]
	v_mul_f64 v[246:247], v[102:103], -s[12:13]
	;; [unrolled: 1-line block ×4, first 2 shown]
	v_mul_f64 v[250:251], v[84:85], v[104:105]
	v_mul_f64 v[254:255], s[12:13], v[104:105]
	v_fma_f64 v[114:115], v[14:15], -v[84:85], v[106:107]
	v_fma_f64 v[122:123], v[84:85], v[14:15], v[106:107]
	s_delay_alu instid0(VALU_DEP_2) | instskip(SKIP_1) | instid1(VALU_DEP_3)
	v_fma_f64 v[168:169], v[8:9], v[100:101], v[114:115]
	v_mul_f64 v[114:115], v[108:109], 0
	v_fma_f64 v[156:157], s[14:15], v[100:101], v[122:123]
	v_mul_f64 v[122:123], v[84:85], v[102:103]
	s_delay_alu instid0(VALU_DEP_3) | instskip(SKIP_1) | instid1(VALU_DEP_2)
	v_fma_f64 v[118:119], v[102:103], -v[84:85], v[114:115]
	v_fma_f64 v[124:125], v[84:85], v[102:103], v[114:115]
	v_fma_f64 v[172:173], v[8:9], v[110:111], v[118:119]
	v_mul_f64 v[118:119], v[240:241], 0
	s_delay_alu instid0(VALU_DEP_3) | instskip(NEXT) | instid1(VALU_DEP_2)
	v_fma_f64 v[160:161], s[14:15], v[110:111], v[124:125]
	v_fma_f64 v[120:121], v[104:105], -v[84:85], v[118:119]
	v_fma_f64 v[124:125], v[84:85], v[104:105], v[118:119]
	s_delay_alu instid0(VALU_DEP_2) | instskip(SKIP_2) | instid1(VALU_DEP_4)
	v_fma_f64 v[170:171], v[8:9], v[10:11], v[120:121]
	v_fma_f64 v[120:121], v[14:15], -s[12:13], v[106:107]
	v_fma_f64 v[106:107], s[12:13], v[14:15], v[106:107]
	v_fma_f64 v[158:159], s[14:15], v[10:11], v[124:125]
	s_delay_alu instid0(VALU_DEP_3)
	v_fma_f64 v[162:163], -v[100:101], v[8:9], v[120:121]
	v_fma_f64 v[120:121], v[102:103], -s[12:13], v[114:115]
	v_fma_f64 v[114:115], s[12:13], v[102:103], v[114:115]
	v_fma_f64 v[150:151], -v[100:101], s[14:15], v[106:107]
	v_mul_f64 v[106:107], s[12:13], v[102:103]
	v_mul_f64 v[102:103], v[102:103], 0
	v_fma_f64 v[164:165], -v[110:111], v[8:9], v[120:121]
	v_fma_f64 v[120:121], v[104:105], -s[12:13], v[118:119]
	v_fma_f64 v[152:153], -v[110:111], s[14:15], v[114:115]
	v_fma_f64 v[114:115], s[12:13], v[104:105], v[118:119]
	v_mul_f64 v[104:105], v[104:105], 0
	s_delay_alu instid0(VALU_DEP_4) | instskip(SKIP_3) | instid1(VALU_DEP_2)
	v_fma_f64 v[166:167], -v[10:11], v[8:9], v[120:121]
	v_mul_f64 v[120:121], v[84:85], v[14:15]
	v_mul_f64 v[14:15], v[14:15], 0
	v_fma_f64 v[154:155], -v[10:11], s[14:15], v[114:115]
	v_fma_f64 v[114:115], v[82:83], v[12:13], v[14:15]
	s_delay_alu instid0(VALU_DEP_1) | instskip(SKIP_1) | instid1(VALU_DEP_1)
	v_fma_f64 v[144:145], v[100:101], -v[8:9], v[114:115]
	v_fma_f64 v[114:115], v[82:83], v[108:109], v[102:103]
	v_fma_f64 v[148:149], v[110:111], -v[8:9], v[114:115]
	v_fma_f64 v[114:115], v[82:83], v[240:241], v[104:105]
	s_delay_alu instid0(VALU_DEP_1) | instskip(SKIP_1) | instid1(VALU_DEP_1)
	v_fma_f64 v[146:147], v[10:11], -v[8:9], v[114:115]
	v_fma_f64 v[114:115], s[10:11], v[12:13], v[14:15]
	v_fma_f64 v[138:139], v[8:9], v[100:101], v[114:115]
	;; [unrolled: 1-line block ×3, first 2 shown]
	s_delay_alu instid0(VALU_DEP_1) | instskip(SKIP_1) | instid1(VALU_DEP_1)
	v_fma_f64 v[140:141], v[8:9], v[110:111], v[114:115]
	v_fma_f64 v[114:115], s[10:11], v[240:241], v[104:105]
	;; [unrolled: 1-line block ×3, first 2 shown]
	v_fma_f64 v[8:9], -v[12:13], v[82:83], v[14:15]
	s_delay_alu instid0(VALU_DEP_1) | instskip(SKIP_1) | instid1(VALU_DEP_1)
	v_fma_f64 v[132:133], v[100:101], -s[14:15], v[8:9]
	v_fma_f64 v[8:9], -v[108:109], v[82:83], v[102:103]
	v_fma_f64 v[136:137], v[110:111], -s[14:15], v[8:9]
	v_fma_f64 v[8:9], -v[240:241], v[82:83], v[104:105]
	s_delay_alu instid0(VALU_DEP_1) | instskip(SKIP_1) | instid1(VALU_DEP_1)
	v_fma_f64 v[134:135], v[10:11], -s[14:15], v[8:9]
	v_fma_f64 v[8:9], -v[12:13], s[10:11], v[14:15]
	v_fma_f64 v[126:127], s[14:15], v[100:101], v[8:9]
	v_fma_f64 v[8:9], -v[108:109], s[10:11], v[102:103]
	s_delay_alu instid0(VALU_DEP_1) | instskip(SKIP_1) | instid1(VALU_DEP_1)
	v_fma_f64 v[128:129], s[14:15], v[110:111], v[8:9]
	v_fma_f64 v[8:9], -v[240:241], s[10:11], v[104:105]
	v_fma_f64 v[130:131], s[14:15], v[10:11], v[8:9]
	v_fma_f64 v[8:9], v[12:13], -v[82:83], v[120:121]
	s_mov_b64 s[14:15], s[6:7]
	s_delay_alu instid0(VALU_DEP_1) | instskip(SKIP_1) | instid1(VALU_DEP_1)
	v_fma_f64 v[120:121], v[100:101], 0, v[8:9]
	v_fma_f64 v[8:9], v[108:109], -v[82:83], v[122:123]
	v_fma_f64 v[124:125], v[110:111], 0, v[8:9]
	v_fma_f64 v[8:9], v[240:241], -v[82:83], v[250:251]
	s_delay_alu instid0(VALU_DEP_1) | instskip(SKIP_1) | instid1(VALU_DEP_1)
	v_fma_f64 v[122:123], v[10:11], 0, v[8:9]
	v_fma_f64 v[8:9], v[12:13], -s[10:11], v[112:113]
	v_fma_f64 v[114:115], v[100:101], 0, v[8:9]
	v_fma_f64 v[8:9], v[108:109], -s[10:11], v[116:117]
	s_delay_alu instid0(VALU_DEP_1) | instskip(SKIP_1) | instid1(VALU_DEP_1)
	v_fma_f64 v[116:117], v[110:111], 0, v[8:9]
	v_fma_f64 v[8:9], v[240:241], -s[10:11], v[242:243]
	v_fma_f64 v[118:119], v[10:11], 0, v[8:9]
	v_fma_f64 v[8:9], v[82:83], v[12:13], v[252:253]
	scratch_load_b128 v[250:253], off, off offset:48
	v_fma_f64 v[104:105], v[100:101], 0, v[8:9]
	v_fma_f64 v[8:9], v[82:83], v[108:109], v[106:107]
	s_delay_alu instid0(VALU_DEP_1) | instskip(SKIP_1) | instid1(VALU_DEP_1)
	v_fma_f64 v[112:113], v[110:111], 0, v[8:9]
	v_fma_f64 v[8:9], v[82:83], v[240:241], v[254:255]
	;; [unrolled: 1-line block ×4, first 2 shown]
	scratch_load_b128 v[242:245], off, off offset:16
	v_fma_f64 v[102:103], v[100:101], 0, v[8:9]
	v_fma_f64 v[8:9], s[10:11], v[108:109], v[246:247]
	v_ldexp_f64 v[100:101], |v[238:239]|, -3
	s_delay_alu instid0(VALU_DEP_2)
	v_fma_f64 v[108:109], v[110:111], 0, v[8:9]
	v_fma_f64 v[8:9], s[10:11], v[240:241], v[248:249]
	s_clause 0x1
	scratch_load_b128 v[238:241], off, off
	scratch_load_b128 v[246:249], off, off offset:32
	v_fma_f64 v[110:111], v[10:11], 0, v[8:9]
	v_mul_f64 v[8:9], v[234:235], v[234:235]
	s_delay_alu instid0(VALU_DEP_1) | instskip(NEXT) | instid1(VALU_DEP_1)
	v_fma_f64 v[8:9], v[232:233], v[232:233], v[8:9]
	v_fma_f64 v[8:9], v[236:237], v[236:237], v[8:9]
	s_waitcnt vmcnt(1)
	s_delay_alu instid0(VALU_DEP_1) | instskip(SKIP_1) | instid1(VALU_DEP_1)
	v_fma_f64 v[238:239], v[100:101], v[8:9], v[238:239]
	v_mul_f64 v[8:9], v[234:235], v[228:229]
	v_fma_f64 v[8:9], v[232:233], v[226:227], v[8:9]
	s_delay_alu instid0(VALU_DEP_1) | instskip(NEXT) | instid1(VALU_DEP_1)
	v_fma_f64 v[8:9], v[236:237], v[230:231], v[8:9]
	v_fma_f64 v[240:241], v[100:101], v[8:9], v[240:241]
	v_mul_f64 v[8:9], v[234:235], v[224:225]
	s_delay_alu instid0(VALU_DEP_1) | instskip(NEXT) | instid1(VALU_DEP_1)
	v_fma_f64 v[8:9], v[232:233], v[220:221], v[8:9]
	v_fma_f64 v[8:9], v[236:237], v[222:223], v[8:9]
	s_delay_alu instid0(VALU_DEP_1) | instskip(SKIP_1) | instid1(VALU_DEP_1)
	v_fma_f64 v[242:243], v[100:101], v[8:9], v[242:243]
	v_mul_f64 v[8:9], v[234:235], v[216:217]
	v_fma_f64 v[8:9], v[232:233], v[214:215], v[8:9]
	s_delay_alu instid0(VALU_DEP_1) | instskip(NEXT) | instid1(VALU_DEP_1)
	v_fma_f64 v[8:9], v[236:237], v[218:219], v[8:9]
	v_fma_f64 v[244:245], v[100:101], v[8:9], v[244:245]
	v_mul_f64 v[8:9], v[234:235], v[212:213]
	s_clause 0x1
	scratch_store_b128 off, v[238:241], off
	scratch_store_b128 off, v[242:245], off offset:16
	v_fma_f64 v[8:9], v[232:233], v[208:209], v[8:9]
	s_delay_alu instid0(VALU_DEP_1) | instskip(SKIP_1) | instid1(VALU_DEP_1)
	v_fma_f64 v[8:9], v[236:237], v[210:211], v[8:9]
	s_waitcnt vmcnt(0)
	v_fma_f64 v[246:247], v[100:101], v[8:9], v[246:247]
	v_mul_f64 v[8:9], v[234:235], v[204:205]
	s_delay_alu instid0(VALU_DEP_1) | instskip(NEXT) | instid1(VALU_DEP_1)
	v_fma_f64 v[8:9], v[232:233], v[202:203], v[8:9]
	v_fma_f64 v[8:9], v[236:237], v[206:207], v[8:9]
	s_delay_alu instid0(VALU_DEP_1) | instskip(SKIP_1) | instid1(VALU_DEP_1)
	v_fma_f64 v[248:249], v[100:101], v[8:9], v[248:249]
	v_mul_f64 v[8:9], v[234:235], v[200:201]
	v_fma_f64 v[8:9], v[232:233], v[196:197], v[8:9]
	s_delay_alu instid0(VALU_DEP_1) | instskip(NEXT) | instid1(VALU_DEP_1)
	v_fma_f64 v[8:9], v[236:237], v[198:199], v[8:9]
	v_fma_f64 v[250:251], v[100:101], v[8:9], v[250:251]
	v_mul_f64 v[8:9], v[234:235], v[192:193]
	s_delay_alu instid0(VALU_DEP_1) | instskip(NEXT) | instid1(VALU_DEP_1)
	v_fma_f64 v[8:9], v[232:233], v[190:191], v[8:9]
	v_fma_f64 v[8:9], v[236:237], v[194:195], v[8:9]
	s_delay_alu instid0(VALU_DEP_1) | instskip(SKIP_1) | instid1(VALU_DEP_1)
	v_fma_f64 v[252:253], v[100:101], v[8:9], v[252:253]
	v_mul_f64 v[8:9], v[234:235], v[188:189]
	v_fma_f64 v[8:9], v[232:233], v[184:185], v[8:9]
	s_delay_alu instid0(VALU_DEP_1) | instskip(SKIP_4) | instid1(VALU_DEP_1)
	v_fma_f64 v[12:13], v[236:237], v[186:187], v[8:9]
	scratch_load_b128 v[8:11], off, off offset:64
	s_waitcnt vmcnt(0)
	v_fma_f64 v[8:9], v[100:101], v[12:13], v[8:9]
	v_mul_f64 v[12:13], v[234:235], v[182:183]
	v_fma_f64 v[12:13], v[232:233], v[178:179], v[12:13]
	s_delay_alu instid0(VALU_DEP_1) | instskip(NEXT) | instid1(VALU_DEP_1)
	v_fma_f64 v[12:13], v[236:237], v[180:181], v[12:13]
	v_fma_f64 v[10:11], v[100:101], v[12:13], v[10:11]
	v_mul_f64 v[12:13], v[234:235], v[176:177]
	v_mul_f64 v[234:235], v[234:235], v[4:5]
	s_clause 0x1
	scratch_store_b128 off, v[246:249], off offset:32
	scratch_store_b128 off, v[8:11], off offset:64
	v_fma_f64 v[12:13], v[232:233], v[174:175], v[12:13]
	v_fma_f64 v[232:233], v[232:233], v[0:1], v[234:235]
	s_delay_alu instid0(VALU_DEP_2) | instskip(SKIP_3) | instid1(VALU_DEP_1)
	v_fma_f64 v[238:239], v[236:237], v[6:7], v[12:13]
	scratch_load_b128 v[12:15], off, off offset:80
	v_fma_f64 v[232:233], v[236:237], v[2:3], v[232:233]
	s_waitcnt vmcnt(0)
	v_fma_f64 v[14:15], v[100:101], v[232:233], v[14:15]
	v_mul_f64 v[232:233], v[228:229], v[228:229]
	v_fma_f64 v[12:13], v[100:101], v[238:239], v[12:13]
	s_delay_alu instid0(VALU_DEP_2) | instskip(NEXT) | instid1(VALU_DEP_1)
	v_fma_f64 v[232:233], v[226:227], v[226:227], v[232:233]
	v_fma_f64 v[236:237], v[230:231], v[230:231], v[232:233]
	scratch_load_b128 v[232:235], off, off offset:104
	s_waitcnt vmcnt(0)
	v_fma_f64 v[238:239], v[100:101], v[236:237], v[232:233]
	v_mul_f64 v[232:233], v[228:229], v[224:225]
	v_dual_mov_b32 v236, v240 :: v_dual_mov_b32 v237, v241
	s_clause 0x1
	scratch_store_b128 off, v[12:15], off offset:80
	scratch_store_b128 off, v[236:239], off offset:96
	v_fma_f64 v[232:233], v[226:227], v[220:221], v[232:233]
	s_delay_alu instid0(VALU_DEP_1) | instskip(NEXT) | instid1(VALU_DEP_1)
	v_fma_f64 v[232:233], v[230:231], v[222:223], v[232:233]
	v_fma_f64 v[232:233], v[100:101], v[232:233], v[234:235]
	v_dual_mov_b32 v234, v242 :: v_dual_mov_b32 v235, v243
	v_dual_mov_b32 v236, v244 :: v_dual_mov_b32 v237, v245
	s_delay_alu instid0(VALU_DEP_3) | instskip(SKIP_2) | instid1(VALU_DEP_1)
	v_dual_mov_b32 v236, v232 :: v_dual_mov_b32 v237, v233
	scratch_store_b128 off, v[234:237], off offset:192
	v_mul_f64 v[234:235], v[228:229], v[216:217]
	v_fma_f64 v[234:235], v[226:227], v[214:215], v[234:235]
	s_delay_alu instid0(VALU_DEP_1)
	v_fma_f64 v[238:239], v[230:231], v[218:219], v[234:235]
	scratch_load_b128 v[234:237], off, off offset:120
	s_waitcnt vmcnt(0)
	v_fma_f64 v[234:235], v[100:101], v[238:239], v[234:235]
	scratch_store_b128 off, v[232:235], off offset:112
	v_dual_mov_b32 v232, v244 :: v_dual_mov_b32 v233, v245
	scratch_store_b128 off, v[232:235], off offset:288
	v_mul_f64 v[232:233], v[228:229], v[212:213]
	s_delay_alu instid0(VALU_DEP_1) | instskip(NEXT) | instid1(VALU_DEP_1)
	v_fma_f64 v[232:233], v[226:227], v[208:209], v[232:233]
	v_fma_f64 v[232:233], v[230:231], v[210:211], v[232:233]
	s_delay_alu instid0(VALU_DEP_1) | instskip(SKIP_2) | instid1(VALU_DEP_3)
	v_fma_f64 v[232:233], v[100:101], v[232:233], v[236:237]
	v_dual_mov_b32 v234, v246 :: v_dual_mov_b32 v235, v247
	v_dual_mov_b32 v236, v248 :: v_dual_mov_b32 v237, v249
	;; [unrolled: 1-line block ×3, first 2 shown]
	scratch_store_b128 off, v[234:237], off offset:384
	v_mul_f64 v[234:235], v[228:229], v[204:205]
	s_delay_alu instid0(VALU_DEP_1) | instskip(NEXT) | instid1(VALU_DEP_1)
	v_fma_f64 v[234:235], v[226:227], v[202:203], v[234:235]
	v_fma_f64 v[238:239], v[230:231], v[206:207], v[234:235]
	scratch_load_b128 v[234:237], off, off offset:136
	s_waitcnt vmcnt(0)
	v_fma_f64 v[234:235], v[100:101], v[238:239], v[234:235]
	scratch_store_b128 off, v[232:235], off offset:128
	v_dual_mov_b32 v232, v248 :: v_dual_mov_b32 v233, v249
	scratch_store_b128 off, v[232:235], off offset:480
	v_mul_f64 v[232:233], v[228:229], v[200:201]
	s_delay_alu instid0(VALU_DEP_1) | instskip(NEXT) | instid1(VALU_DEP_1)
	v_fma_f64 v[232:233], v[226:227], v[196:197], v[232:233]
	v_fma_f64 v[232:233], v[230:231], v[198:199], v[232:233]
	s_delay_alu instid0(VALU_DEP_1) | instskip(SKIP_2) | instid1(VALU_DEP_3)
	v_fma_f64 v[232:233], v[100:101], v[232:233], v[236:237]
	v_dual_mov_b32 v234, v250 :: v_dual_mov_b32 v235, v251
	v_dual_mov_b32 v236, v252 :: v_dual_mov_b32 v237, v253
	;; [unrolled: 1-line block ×3, first 2 shown]
	scratch_store_b128 off, v[234:237], off offset:576
	v_mul_f64 v[234:235], v[228:229], v[192:193]
	s_delay_alu instid0(VALU_DEP_1) | instskip(NEXT) | instid1(VALU_DEP_1)
	v_fma_f64 v[234:235], v[226:227], v[190:191], v[234:235]
	v_fma_f64 v[238:239], v[230:231], v[194:195], v[234:235]
	scratch_load_b128 v[234:237], off, off offset:152
	s_waitcnt vmcnt(0)
	v_fma_f64 v[234:235], v[100:101], v[238:239], v[234:235]
	scratch_store_b128 off, v[232:235], off offset:144
	v_dual_mov_b32 v232, v252 :: v_dual_mov_b32 v233, v253
	scratch_store_b128 off, v[232:235], off offset:672
	v_mul_f64 v[232:233], v[228:229], v[188:189]
	s_delay_alu instid0(VALU_DEP_1) | instskip(NEXT) | instid1(VALU_DEP_1)
	v_fma_f64 v[232:233], v[226:227], v[184:185], v[232:233]
	v_fma_f64 v[232:233], v[230:231], v[186:187], v[232:233]
	s_delay_alu instid0(VALU_DEP_1) | instskip(SKIP_3) | instid1(VALU_DEP_4)
	v_fma_f64 v[232:233], v[100:101], v[232:233], v[236:237]
	v_dual_mov_b32 v237, v11 :: v_dual_mov_b32 v236, v10
	v_dual_mov_b32 v235, v9 :: v_dual_mov_b32 v234, v8
	v_mul_f64 v[8:9], v[228:229], v[182:183]
	v_dual_mov_b32 v236, v232 :: v_dual_mov_b32 v237, v233
	s_delay_alu instid0(VALU_DEP_2) | instskip(SKIP_4) | instid1(VALU_DEP_1)
	v_fma_f64 v[8:9], v[226:227], v[178:179], v[8:9]
	scratch_store_b128 off, v[234:237], off offset:768
	scratch_load_b128 v[234:237], off, off offset:168
	v_fma_f64 v[8:9], v[230:231], v[180:181], v[8:9]
	s_waitcnt vmcnt(0)
	v_fma_f64 v[234:235], v[100:101], v[8:9], v[234:235]
	v_mul_f64 v[8:9], v[228:229], v[176:177]
	scratch_store_b128 off, v[232:235], off offset:160
	v_fma_f64 v[8:9], v[226:227], v[174:175], v[8:9]
	v_dual_mov_b32 v232, v10 :: v_dual_mov_b32 v233, v11
	s_delay_alu instid0(VALU_DEP_2) | instskip(NEXT) | instid1(VALU_DEP_1)
	v_fma_f64 v[8:9], v[230:231], v[6:7], v[8:9]
	v_fma_f64 v[8:9], v[100:101], v[8:9], v[236:237]
	v_mov_b32_e32 v10, v12
	v_dual_mov_b32 v11, v13 :: v_dual_mov_b32 v12, v14
	s_delay_alu instid0(VALU_DEP_3) | instskip(NEXT) | instid1(VALU_DEP_4)
	v_dual_mov_b32 v13, v15 :: v_dual_mov_b32 v12, v8
	v_mov_b32_e32 v13, v9
	scratch_store_b128 off, v[10:13], off offset:960
	scratch_load_b64 v[12:13], off, off offset:184
	v_mul_f64 v[10:11], v[228:229], v[4:5]
	s_delay_alu instid0(VALU_DEP_1) | instskip(SKIP_3) | instid1(VALU_DEP_1)
	v_fma_f64 v[10:11], v[226:227], v[0:1], v[10:11]
	scratch_load_b128 v[226:229], off, off offset:240
	v_fma_f64 v[10:11], v[230:231], v[2:3], v[10:11]
	s_waitcnt vmcnt(1)
	v_fma_f64 v[10:11], v[100:101], v[10:11], v[12:13]
	scratch_store_b128 off, v[232:235], off offset:864
	s_clause 0x1
	scratch_load_b128 v[230:233], off, off offset:256
	scratch_load_b128 v[234:237], off, off offset:272
	scratch_store_b128 off, v[8:11], off offset:176
	v_dual_mov_b32 v8, v14 :: v_dual_mov_b32 v9, v15
	scratch_store_b128 off, v[8:11], off offset:1056
	v_mul_f64 v[8:9], v[224:225], v[224:225]
	s_delay_alu instid0(VALU_DEP_1) | instskip(NEXT) | instid1(VALU_DEP_1)
	v_fma_f64 v[8:9], v[220:221], v[220:221], v[8:9]
	v_fma_f64 v[12:13], v[222:223], v[222:223], v[8:9]
	scratch_load_b128 v[8:11], off, off offset:208
	s_waitcnt vmcnt(0)
	v_fma_f64 v[8:9], v[100:101], v[12:13], v[8:9]
	v_mul_f64 v[12:13], v[224:225], v[216:217]
	s_delay_alu instid0(VALU_DEP_1) | instskip(NEXT) | instid1(VALU_DEP_1)
	v_fma_f64 v[12:13], v[220:221], v[214:215], v[12:13]
	v_fma_f64 v[12:13], v[222:223], v[218:219], v[12:13]
	s_delay_alu instid0(VALU_DEP_1) | instskip(SKIP_4) | instid1(VALU_DEP_2)
	v_fma_f64 v[10:11], v[100:101], v[12:13], v[10:11]
	scratch_load_b128 v[12:15], off, off offset:224
	scratch_store_b128 off, v[8:11], off offset:208
	v_mul_f64 v[8:9], v[224:225], v[212:213]
	v_dual_mov_b32 v238, v10 :: v_dual_mov_b32 v239, v11
	v_fma_f64 v[8:9], v[220:221], v[208:209], v[8:9]
	s_delay_alu instid0(VALU_DEP_1) | instskip(SKIP_1) | instid1(VALU_DEP_1)
	v_fma_f64 v[8:9], v[222:223], v[210:211], v[8:9]
	s_waitcnt vmcnt(0)
	v_fma_f64 v[12:13], v[100:101], v[8:9], v[12:13]
	v_mul_f64 v[8:9], v[224:225], v[204:205]
	s_delay_alu instid0(VALU_DEP_1) | instskip(NEXT) | instid1(VALU_DEP_1)
	v_fma_f64 v[8:9], v[220:221], v[202:203], v[8:9]
	v_fma_f64 v[8:9], v[222:223], v[206:207], v[8:9]
	s_delay_alu instid0(VALU_DEP_1) | instskip(SKIP_3) | instid1(VALU_DEP_1)
	v_fma_f64 v[14:15], v[100:101], v[8:9], v[14:15]
	v_mul_f64 v[8:9], v[224:225], v[200:201]
	scratch_store_b128 off, v[12:15], off offset:224
	v_fma_f64 v[8:9], v[220:221], v[196:197], v[8:9]
	v_fma_f64 v[8:9], v[222:223], v[198:199], v[8:9]
	s_delay_alu instid0(VALU_DEP_1) | instskip(SKIP_1) | instid1(VALU_DEP_1)
	v_fma_f64 v[226:227], v[100:101], v[8:9], v[226:227]
	v_mul_f64 v[8:9], v[224:225], v[192:193]
	v_fma_f64 v[8:9], v[220:221], v[190:191], v[8:9]
	s_delay_alu instid0(VALU_DEP_1) | instskip(NEXT) | instid1(VALU_DEP_1)
	v_fma_f64 v[8:9], v[222:223], v[194:195], v[8:9]
	v_fma_f64 v[228:229], v[100:101], v[8:9], v[228:229]
	v_mul_f64 v[8:9], v[224:225], v[188:189]
	s_delay_alu instid0(VALU_DEP_1) | instskip(NEXT) | instid1(VALU_DEP_1)
	v_fma_f64 v[8:9], v[220:221], v[184:185], v[8:9]
	v_fma_f64 v[8:9], v[222:223], v[186:187], v[8:9]
	s_delay_alu instid0(VALU_DEP_1) | instskip(SKIP_1) | instid1(VALU_DEP_1)
	v_fma_f64 v[230:231], v[100:101], v[8:9], v[230:231]
	v_mul_f64 v[8:9], v[224:225], v[182:183]
	v_fma_f64 v[8:9], v[220:221], v[178:179], v[8:9]
	s_delay_alu instid0(VALU_DEP_1) | instskip(NEXT) | instid1(VALU_DEP_1)
	v_fma_f64 v[8:9], v[222:223], v[180:181], v[8:9]
	v_fma_f64 v[232:233], v[100:101], v[8:9], v[232:233]
	v_mul_f64 v[8:9], v[224:225], v[176:177]
	s_delay_alu instid0(VALU_DEP_1) | instskip(NEXT) | instid1(VALU_DEP_1)
	v_fma_f64 v[8:9], v[220:221], v[174:175], v[8:9]
	v_fma_f64 v[8:9], v[222:223], v[6:7], v[8:9]
	s_delay_alu instid0(VALU_DEP_1) | instskip(SKIP_1) | instid1(VALU_DEP_1)
	v_fma_f64 v[234:235], v[100:101], v[8:9], v[234:235]
	v_mul_f64 v[8:9], v[224:225], v[4:5]
	v_fma_f64 v[8:9], v[220:221], v[0:1], v[8:9]
	s_delay_alu instid0(VALU_DEP_1) | instskip(SKIP_3) | instid1(VALU_DEP_1)
	v_fma_f64 v[8:9], v[222:223], v[2:3], v[8:9]
	scratch_load_b128 v[220:223], off, off offset:312
	v_fma_f64 v[236:237], v[100:101], v[8:9], v[236:237]
	v_mul_f64 v[8:9], v[216:217], v[216:217]
	v_fma_f64 v[8:9], v[214:215], v[214:215], v[8:9]
	s_delay_alu instid0(VALU_DEP_1) | instskip(SKIP_1) | instid1(VALU_DEP_1)
	v_fma_f64 v[8:9], v[218:219], v[218:219], v[8:9]
	s_waitcnt vmcnt(0)
	v_fma_f64 v[240:241], v[100:101], v[8:9], v[220:221]
	v_mul_f64 v[8:9], v[216:217], v[212:213]
	s_delay_alu instid0(VALU_DEP_1) | instskip(NEXT) | instid1(VALU_DEP_1)
	v_fma_f64 v[8:9], v[214:215], v[208:209], v[8:9]
	v_fma_f64 v[8:9], v[218:219], v[210:211], v[8:9]
	s_delay_alu instid0(VALU_DEP_1) | instskip(SKIP_2) | instid1(VALU_DEP_3)
	v_fma_f64 v[8:9], v[100:101], v[8:9], v[222:223]
	v_mov_b32_e32 v10, v12
	v_dual_mov_b32 v11, v13 :: v_dual_mov_b32 v12, v14
	v_dual_mov_b32 v13, v15 :: v_dual_mov_b32 v12, v8
	s_delay_alu instid0(VALU_DEP_4) | instskip(SKIP_2) | instid1(VALU_DEP_1)
	v_mov_b32_e32 v13, v9
	scratch_store_b128 off, v[10:13], off offset:400
	v_mul_f64 v[10:11], v[216:217], v[204:205]
	v_fma_f64 v[10:11], v[214:215], v[202:203], v[10:11]
	s_delay_alu instid0(VALU_DEP_1)
	v_fma_f64 v[220:221], v[218:219], v[206:207], v[10:11]
	scratch_load_b128 v[10:13], off, off offset:328
	s_waitcnt vmcnt(0)
	v_fma_f64 v[10:11], v[100:101], v[220:221], v[10:11]
	scratch_store_b128 off, v[8:11], off offset:320
	v_dual_mov_b32 v8, v14 :: v_dual_mov_b32 v9, v15
	scratch_store_b128 off, v[8:11], off offset:496
	v_mul_f64 v[8:9], v[216:217], v[200:201]
	s_delay_alu instid0(VALU_DEP_1) | instskip(NEXT) | instid1(VALU_DEP_1)
	v_fma_f64 v[8:9], v[214:215], v[196:197], v[8:9]
	v_fma_f64 v[8:9], v[218:219], v[198:199], v[8:9]
	s_delay_alu instid0(VALU_DEP_1) | instskip(SKIP_2) | instid1(VALU_DEP_3)
	v_fma_f64 v[8:9], v[100:101], v[8:9], v[12:13]
	v_dual_mov_b32 v10, v226 :: v_dual_mov_b32 v11, v227
	v_dual_mov_b32 v12, v228 :: v_dual_mov_b32 v13, v229
	;; [unrolled: 1-line block ×3, first 2 shown]
	scratch_store_b128 off, v[10:13], off offset:592
	v_mul_f64 v[10:11], v[216:217], v[192:193]
	s_delay_alu instid0(VALU_DEP_1) | instskip(NEXT) | instid1(VALU_DEP_1)
	v_fma_f64 v[10:11], v[214:215], v[190:191], v[10:11]
	v_fma_f64 v[14:15], v[218:219], v[194:195], v[10:11]
	scratch_load_b128 v[10:13], off, off offset:344
	s_waitcnt vmcnt(0)
	v_fma_f64 v[10:11], v[100:101], v[14:15], v[10:11]
	scratch_store_b128 off, v[8:11], off offset:336
	v_dual_mov_b32 v8, v228 :: v_dual_mov_b32 v9, v229
	scratch_store_b128 off, v[8:11], off offset:688
	v_mul_f64 v[8:9], v[216:217], v[188:189]
	s_delay_alu instid0(VALU_DEP_1) | instskip(NEXT) | instid1(VALU_DEP_1)
	v_fma_f64 v[8:9], v[214:215], v[184:185], v[8:9]
	v_fma_f64 v[8:9], v[218:219], v[186:187], v[8:9]
	s_delay_alu instid0(VALU_DEP_1) | instskip(SKIP_2) | instid1(VALU_DEP_3)
	v_fma_f64 v[8:9], v[100:101], v[8:9], v[12:13]
	v_dual_mov_b32 v10, v230 :: v_dual_mov_b32 v11, v231
	v_dual_mov_b32 v12, v232 :: v_dual_mov_b32 v13, v233
	;; [unrolled: 1-line block ×3, first 2 shown]
	scratch_store_b128 off, v[10:13], off offset:784
	v_mul_f64 v[10:11], v[216:217], v[182:183]
	s_delay_alu instid0(VALU_DEP_1) | instskip(NEXT) | instid1(VALU_DEP_1)
	v_fma_f64 v[10:11], v[214:215], v[178:179], v[10:11]
	v_fma_f64 v[14:15], v[218:219], v[180:181], v[10:11]
	scratch_load_b128 v[10:13], off, off offset:360
	s_waitcnt vmcnt(0)
	v_fma_f64 v[10:11], v[100:101], v[14:15], v[10:11]
	scratch_store_b128 off, v[8:11], off offset:352
	v_dual_mov_b32 v8, v232 :: v_dual_mov_b32 v9, v233
	scratch_store_b128 off, v[8:11], off offset:880
	v_mul_f64 v[8:9], v[216:217], v[176:177]
	s_delay_alu instid0(VALU_DEP_1) | instskip(NEXT) | instid1(VALU_DEP_1)
	v_fma_f64 v[8:9], v[214:215], v[174:175], v[8:9]
	v_fma_f64 v[8:9], v[218:219], v[6:7], v[8:9]
	s_delay_alu instid0(VALU_DEP_1) | instskip(SKIP_2) | instid1(VALU_DEP_3)
	v_fma_f64 v[8:9], v[100:101], v[8:9], v[12:13]
	v_dual_mov_b32 v10, v234 :: v_dual_mov_b32 v11, v235
	v_dual_mov_b32 v12, v236 :: v_dual_mov_b32 v13, v237
	;; [unrolled: 1-line block ×3, first 2 shown]
	scratch_store_b128 off, v[10:13], off offset:976
	scratch_load_b64 v[12:13], off, off offset:376
	v_mul_f64 v[10:11], v[216:217], v[4:5]
	s_delay_alu instid0(VALU_DEP_1)
	v_fma_f64 v[10:11], v[214:215], v[0:1], v[10:11]
	scratch_load_b128 v[214:217], off, off offset:448
	v_fma_f64 v[10:11], v[218:219], v[2:3], v[10:11]
	scratch_load_b128 v[218:221], off, off offset:464
	s_waitcnt vmcnt(2)
	v_fma_f64 v[10:11], v[100:101], v[10:11], v[12:13]
	scratch_store_b128 off, v[8:11], off offset:368
	v_dual_mov_b32 v8, v236 :: v_dual_mov_b32 v9, v237
	scratch_store_b128 off, v[8:11], off offset:1072
	v_mul_f64 v[8:9], v[212:213], v[212:213]
	s_delay_alu instid0(VALU_DEP_1) | instskip(NEXT) | instid1(VALU_DEP_1)
	v_fma_f64 v[8:9], v[208:209], v[208:209], v[8:9]
	v_fma_f64 v[12:13], v[210:211], v[210:211], v[8:9]
	scratch_load_b128 v[8:11], off, off offset:416
	s_waitcnt vmcnt(0)
	v_fma_f64 v[8:9], v[100:101], v[12:13], v[8:9]
	v_mul_f64 v[12:13], v[212:213], v[204:205]
	s_delay_alu instid0(VALU_DEP_1) | instskip(NEXT) | instid1(VALU_DEP_1)
	v_fma_f64 v[12:13], v[208:209], v[202:203], v[12:13]
	v_fma_f64 v[12:13], v[210:211], v[206:207], v[12:13]
	s_delay_alu instid0(VALU_DEP_1) | instskip(SKIP_4) | instid1(VALU_DEP_2)
	v_fma_f64 v[10:11], v[100:101], v[12:13], v[10:11]
	scratch_load_b128 v[12:15], off, off offset:432
	scratch_store_b128 off, v[8:11], off offset:416
	v_mul_f64 v[8:9], v[212:213], v[200:201]
	v_dual_mov_b32 v222, v10 :: v_dual_mov_b32 v223, v11
	v_fma_f64 v[8:9], v[208:209], v[196:197], v[8:9]
	s_delay_alu instid0(VALU_DEP_1) | instskip(SKIP_1) | instid1(VALU_DEP_1)
	v_fma_f64 v[8:9], v[210:211], v[198:199], v[8:9]
	s_waitcnt vmcnt(0)
	v_fma_f64 v[12:13], v[100:101], v[8:9], v[12:13]
	v_mul_f64 v[8:9], v[212:213], v[192:193]
	s_delay_alu instid0(VALU_DEP_1) | instskip(NEXT) | instid1(VALU_DEP_1)
	v_fma_f64 v[8:9], v[208:209], v[190:191], v[8:9]
	v_fma_f64 v[8:9], v[210:211], v[194:195], v[8:9]
	s_delay_alu instid0(VALU_DEP_1) | instskip(SKIP_3) | instid1(VALU_DEP_1)
	v_fma_f64 v[14:15], v[100:101], v[8:9], v[14:15]
	v_mul_f64 v[8:9], v[212:213], v[188:189]
	scratch_store_b128 off, v[12:15], off offset:432
	v_fma_f64 v[8:9], v[208:209], v[184:185], v[8:9]
	v_fma_f64 v[8:9], v[210:211], v[186:187], v[8:9]
	s_delay_alu instid0(VALU_DEP_1) | instskip(SKIP_1) | instid1(VALU_DEP_1)
	v_fma_f64 v[214:215], v[100:101], v[8:9], v[214:215]
	v_mul_f64 v[8:9], v[212:213], v[182:183]
	v_fma_f64 v[8:9], v[208:209], v[178:179], v[8:9]
	s_delay_alu instid0(VALU_DEP_1) | instskip(NEXT) | instid1(VALU_DEP_1)
	v_fma_f64 v[8:9], v[210:211], v[180:181], v[8:9]
	v_fma_f64 v[216:217], v[100:101], v[8:9], v[216:217]
	v_mul_f64 v[8:9], v[212:213], v[176:177]
	s_delay_alu instid0(VALU_DEP_1) | instskip(NEXT) | instid1(VALU_DEP_1)
	v_fma_f64 v[8:9], v[208:209], v[174:175], v[8:9]
	v_fma_f64 v[8:9], v[210:211], v[6:7], v[8:9]
	s_delay_alu instid0(VALU_DEP_1) | instskip(SKIP_1) | instid1(VALU_DEP_1)
	v_fma_f64 v[218:219], v[100:101], v[8:9], v[218:219]
	v_mul_f64 v[8:9], v[212:213], v[4:5]
	v_fma_f64 v[8:9], v[208:209], v[0:1], v[8:9]
	s_delay_alu instid0(VALU_DEP_1) | instskip(SKIP_3) | instid1(VALU_DEP_1)
	v_fma_f64 v[8:9], v[210:211], v[2:3], v[8:9]
	scratch_load_b128 v[208:211], off, off offset:520
	v_fma_f64 v[220:221], v[100:101], v[8:9], v[220:221]
	v_mul_f64 v[8:9], v[204:205], v[204:205]
	v_fma_f64 v[8:9], v[202:203], v[202:203], v[8:9]
	s_delay_alu instid0(VALU_DEP_1) | instskip(SKIP_1) | instid1(VALU_DEP_1)
	v_fma_f64 v[8:9], v[206:207], v[206:207], v[8:9]
	s_waitcnt vmcnt(0)
	v_fma_f64 v[224:225], v[100:101], v[8:9], v[208:209]
	v_mul_f64 v[8:9], v[204:205], v[200:201]
	s_delay_alu instid0(VALU_DEP_1) | instskip(NEXT) | instid1(VALU_DEP_1)
	v_fma_f64 v[8:9], v[202:203], v[196:197], v[8:9]
	v_fma_f64 v[8:9], v[206:207], v[198:199], v[8:9]
	s_delay_alu instid0(VALU_DEP_1) | instskip(SKIP_2) | instid1(VALU_DEP_3)
	v_fma_f64 v[8:9], v[100:101], v[8:9], v[210:211]
	v_mov_b32_e32 v10, v12
	v_dual_mov_b32 v11, v13 :: v_dual_mov_b32 v12, v14
	v_dual_mov_b32 v13, v15 :: v_dual_mov_b32 v12, v8
	s_delay_alu instid0(VALU_DEP_4) | instskip(SKIP_2) | instid1(VALU_DEP_1)
	v_mov_b32_e32 v13, v9
	scratch_store_b128 off, v[10:13], off offset:608
	v_mul_f64 v[10:11], v[204:205], v[192:193]
	v_fma_f64 v[10:11], v[202:203], v[190:191], v[10:11]
	s_delay_alu instid0(VALU_DEP_1)
	v_fma_f64 v[208:209], v[206:207], v[194:195], v[10:11]
	scratch_load_b128 v[10:13], off, off offset:536
	s_waitcnt vmcnt(0)
	v_fma_f64 v[10:11], v[100:101], v[208:209], v[10:11]
	scratch_store_b128 off, v[8:11], off offset:528
	v_dual_mov_b32 v8, v14 :: v_dual_mov_b32 v9, v15
	scratch_store_b128 off, v[8:11], off offset:704
	v_mul_f64 v[8:9], v[204:205], v[188:189]
	s_delay_alu instid0(VALU_DEP_1) | instskip(NEXT) | instid1(VALU_DEP_1)
	v_fma_f64 v[8:9], v[202:203], v[184:185], v[8:9]
	v_fma_f64 v[8:9], v[206:207], v[186:187], v[8:9]
	s_delay_alu instid0(VALU_DEP_1) | instskip(SKIP_2) | instid1(VALU_DEP_3)
	v_fma_f64 v[8:9], v[100:101], v[8:9], v[12:13]
	v_dual_mov_b32 v10, v214 :: v_dual_mov_b32 v11, v215
	v_dual_mov_b32 v12, v216 :: v_dual_mov_b32 v13, v217
	;; [unrolled: 1-line block ×3, first 2 shown]
	scratch_store_b128 off, v[10:13], off offset:800
	v_mul_f64 v[10:11], v[204:205], v[182:183]
	s_delay_alu instid0(VALU_DEP_1) | instskip(NEXT) | instid1(VALU_DEP_1)
	v_fma_f64 v[10:11], v[202:203], v[178:179], v[10:11]
	v_fma_f64 v[14:15], v[206:207], v[180:181], v[10:11]
	scratch_load_b128 v[10:13], off, off offset:552
	s_waitcnt vmcnt(0)
	v_fma_f64 v[10:11], v[100:101], v[14:15], v[10:11]
	scratch_store_b128 off, v[8:11], off offset:544
	v_dual_mov_b32 v8, v216 :: v_dual_mov_b32 v9, v217
	scratch_store_b128 off, v[8:11], off offset:896
	v_mul_f64 v[8:9], v[204:205], v[176:177]
	s_delay_alu instid0(VALU_DEP_1) | instskip(NEXT) | instid1(VALU_DEP_1)
	v_fma_f64 v[8:9], v[202:203], v[174:175], v[8:9]
	v_fma_f64 v[8:9], v[206:207], v[6:7], v[8:9]
	s_delay_alu instid0(VALU_DEP_1) | instskip(SKIP_2) | instid1(VALU_DEP_3)
	v_fma_f64 v[8:9], v[100:101], v[8:9], v[12:13]
	v_dual_mov_b32 v10, v218 :: v_dual_mov_b32 v11, v219
	v_dual_mov_b32 v12, v220 :: v_dual_mov_b32 v13, v221
	;; [unrolled: 1-line block ×3, first 2 shown]
	scratch_store_b128 off, v[10:13], off offset:992
	scratch_load_b64 v[12:13], off, off offset:568
	v_mul_f64 v[10:11], v[204:205], v[4:5]
	s_delay_alu instid0(VALU_DEP_1) | instskip(SKIP_3) | instid1(VALU_DEP_1)
	v_fma_f64 v[10:11], v[202:203], v[0:1], v[10:11]
	scratch_load_b128 v[202:205], off, off offset:656
	v_fma_f64 v[10:11], v[206:207], v[2:3], v[10:11]
	s_waitcnt vmcnt(1)
	v_fma_f64 v[10:11], v[100:101], v[10:11], v[12:13]
	scratch_store_b128 off, v[8:11], off offset:560
	v_dual_mov_b32 v8, v220 :: v_dual_mov_b32 v9, v221
	scratch_store_b128 off, v[8:11], off offset:1088
	v_mul_f64 v[8:9], v[200:201], v[200:201]
	s_delay_alu instid0(VALU_DEP_1) | instskip(NEXT) | instid1(VALU_DEP_1)
	v_fma_f64 v[8:9], v[196:197], v[196:197], v[8:9]
	v_fma_f64 v[12:13], v[198:199], v[198:199], v[8:9]
	scratch_load_b128 v[8:11], off, off offset:624
	s_waitcnt vmcnt(0)
	v_fma_f64 v[8:9], v[100:101], v[12:13], v[8:9]
	v_mul_f64 v[12:13], v[200:201], v[192:193]
	s_delay_alu instid0(VALU_DEP_1) | instskip(NEXT) | instid1(VALU_DEP_1)
	v_fma_f64 v[12:13], v[196:197], v[190:191], v[12:13]
	v_fma_f64 v[12:13], v[198:199], v[194:195], v[12:13]
	s_delay_alu instid0(VALU_DEP_1) | instskip(SKIP_4) | instid1(VALU_DEP_2)
	v_fma_f64 v[10:11], v[100:101], v[12:13], v[10:11]
	scratch_load_b128 v[12:15], off, off offset:640
	scratch_store_b128 off, v[8:11], off offset:624
	v_mul_f64 v[8:9], v[200:201], v[188:189]
	v_dual_mov_b32 v206, v10 :: v_dual_mov_b32 v207, v11
	v_fma_f64 v[8:9], v[196:197], v[184:185], v[8:9]
	s_delay_alu instid0(VALU_DEP_1) | instskip(SKIP_1) | instid1(VALU_DEP_1)
	v_fma_f64 v[8:9], v[198:199], v[186:187], v[8:9]
	s_waitcnt vmcnt(0)
	v_fma_f64 v[12:13], v[100:101], v[8:9], v[12:13]
	v_mul_f64 v[8:9], v[200:201], v[182:183]
	s_delay_alu instid0(VALU_DEP_1) | instskip(NEXT) | instid1(VALU_DEP_1)
	v_fma_f64 v[8:9], v[196:197], v[178:179], v[8:9]
	v_fma_f64 v[8:9], v[198:199], v[180:181], v[8:9]
	s_delay_alu instid0(VALU_DEP_1) | instskip(SKIP_3) | instid1(VALU_DEP_1)
	v_fma_f64 v[14:15], v[100:101], v[8:9], v[14:15]
	v_mul_f64 v[8:9], v[200:201], v[176:177]
	scratch_store_b128 off, v[12:15], off offset:640
	v_fma_f64 v[8:9], v[196:197], v[174:175], v[8:9]
	v_fma_f64 v[8:9], v[198:199], v[6:7], v[8:9]
	s_delay_alu instid0(VALU_DEP_1) | instskip(SKIP_1) | instid1(VALU_DEP_1)
	v_fma_f64 v[202:203], v[100:101], v[8:9], v[202:203]
	v_mul_f64 v[8:9], v[200:201], v[4:5]
	v_fma_f64 v[8:9], v[196:197], v[0:1], v[8:9]
	s_delay_alu instid0(VALU_DEP_1) | instskip(SKIP_3) | instid1(VALU_DEP_1)
	v_fma_f64 v[8:9], v[198:199], v[2:3], v[8:9]
	scratch_load_b128 v[196:199], off, off offset:728
	v_fma_f64 v[204:205], v[100:101], v[8:9], v[204:205]
	v_mul_f64 v[8:9], v[192:193], v[192:193]
	v_fma_f64 v[8:9], v[190:191], v[190:191], v[8:9]
	s_delay_alu instid0(VALU_DEP_1) | instskip(SKIP_1) | instid1(VALU_DEP_1)
	v_fma_f64 v[8:9], v[194:195], v[194:195], v[8:9]
	s_waitcnt vmcnt(0)
	v_fma_f64 v[208:209], v[100:101], v[8:9], v[196:197]
	v_mul_f64 v[8:9], v[192:193], v[188:189]
	s_delay_alu instid0(VALU_DEP_1) | instskip(NEXT) | instid1(VALU_DEP_1)
	v_fma_f64 v[8:9], v[190:191], v[184:185], v[8:9]
	v_fma_f64 v[8:9], v[194:195], v[186:187], v[8:9]
	s_delay_alu instid0(VALU_DEP_1) | instskip(SKIP_2) | instid1(VALU_DEP_3)
	v_fma_f64 v[8:9], v[100:101], v[8:9], v[198:199]
	v_mov_b32_e32 v10, v12
	v_dual_mov_b32 v11, v13 :: v_dual_mov_b32 v12, v14
	v_dual_mov_b32 v13, v15 :: v_dual_mov_b32 v12, v8
	s_delay_alu instid0(VALU_DEP_4) | instskip(SKIP_2) | instid1(VALU_DEP_1)
	v_mov_b32_e32 v13, v9
	scratch_store_b128 off, v[10:13], off offset:816
	v_mul_f64 v[10:11], v[192:193], v[182:183]
	v_fma_f64 v[10:11], v[190:191], v[178:179], v[10:11]
	s_delay_alu instid0(VALU_DEP_1)
	v_fma_f64 v[196:197], v[194:195], v[180:181], v[10:11]
	scratch_load_b128 v[10:13], off, off offset:744
	s_waitcnt vmcnt(0)
	v_fma_f64 v[10:11], v[100:101], v[196:197], v[10:11]
	scratch_store_b128 off, v[8:11], off offset:736
	v_dual_mov_b32 v8, v14 :: v_dual_mov_b32 v9, v15
	scratch_store_b128 off, v[8:11], off offset:912
	v_mul_f64 v[8:9], v[192:193], v[176:177]
	s_delay_alu instid0(VALU_DEP_1) | instskip(NEXT) | instid1(VALU_DEP_1)
	v_fma_f64 v[8:9], v[190:191], v[174:175], v[8:9]
	v_fma_f64 v[8:9], v[194:195], v[6:7], v[8:9]
	s_delay_alu instid0(VALU_DEP_1) | instskip(SKIP_2) | instid1(VALU_DEP_3)
	v_fma_f64 v[8:9], v[100:101], v[8:9], v[12:13]
	v_dual_mov_b32 v10, v202 :: v_dual_mov_b32 v11, v203
	v_dual_mov_b32 v12, v204 :: v_dual_mov_b32 v13, v205
	;; [unrolled: 1-line block ×3, first 2 shown]
	scratch_store_b128 off, v[10:13], off offset:1008
	scratch_load_b64 v[12:13], off, off offset:760
	v_mul_f64 v[10:11], v[192:193], v[4:5]
	s_delay_alu instid0(VALU_DEP_1) | instskip(NEXT) | instid1(VALU_DEP_1)
	v_fma_f64 v[10:11], v[190:191], v[0:1], v[10:11]
	v_fma_f64 v[10:11], v[194:195], v[2:3], v[10:11]
	s_waitcnt vmcnt(0)
	s_delay_alu instid0(VALU_DEP_1) | instskip(SKIP_4) | instid1(VALU_DEP_1)
	v_fma_f64 v[10:11], v[100:101], v[10:11], v[12:13]
	scratch_store_b128 off, v[8:11], off offset:752
	v_dual_mov_b32 v8, v204 :: v_dual_mov_b32 v9, v205
	scratch_store_b128 off, v[8:11], off offset:1104
	v_mul_f64 v[8:9], v[188:189], v[188:189]
	v_fma_f64 v[8:9], v[184:185], v[184:185], v[8:9]
	s_delay_alu instid0(VALU_DEP_1) | instskip(SKIP_4) | instid1(VALU_DEP_1)
	v_fma_f64 v[12:13], v[186:187], v[186:187], v[8:9]
	scratch_load_b128 v[8:11], off, off offset:832
	s_waitcnt vmcnt(0)
	v_fma_f64 v[8:9], v[100:101], v[12:13], v[8:9]
	v_mul_f64 v[12:13], v[188:189], v[182:183]
	v_fma_f64 v[12:13], v[184:185], v[178:179], v[12:13]
	s_delay_alu instid0(VALU_DEP_1) | instskip(NEXT) | instid1(VALU_DEP_1)
	v_fma_f64 v[12:13], v[186:187], v[180:181], v[12:13]
	v_fma_f64 v[10:11], v[100:101], v[12:13], v[10:11]
	scratch_load_b128 v[12:15], off, off offset:848
	scratch_store_b128 off, v[8:11], off offset:832
	v_mul_f64 v[8:9], v[188:189], v[176:177]
	s_delay_alu instid0(VALU_DEP_1) | instskip(NEXT) | instid1(VALU_DEP_1)
	v_fma_f64 v[8:9], v[184:185], v[174:175], v[8:9]
	v_fma_f64 v[8:9], v[186:187], v[6:7], v[8:9]
	s_waitcnt vmcnt(0)
	s_delay_alu instid0(VALU_DEP_1) | instskip(SKIP_2) | instid1(VALU_DEP_2)
	v_fma_f64 v[12:13], v[100:101], v[8:9], v[12:13]
	v_mul_f64 v[8:9], v[188:189], v[4:5]
	v_dual_mov_b32 v188, v10 :: v_dual_mov_b32 v189, v11
	v_fma_f64 v[8:9], v[184:185], v[0:1], v[8:9]
	s_delay_alu instid0(VALU_DEP_1)
	v_fma_f64 v[8:9], v[186:187], v[2:3], v[8:9]
	scratch_load_b128 v[184:187], off, off offset:936
	v_fma_f64 v[14:15], v[100:101], v[8:9], v[14:15]
	v_mul_f64 v[8:9], v[182:183], v[182:183]
	scratch_store_b128 off, v[12:15], off offset:848
	v_fma_f64 v[8:9], v[178:179], v[178:179], v[8:9]
	s_delay_alu instid0(VALU_DEP_1) | instskip(SKIP_1) | instid1(VALU_DEP_1)
	v_fma_f64 v[8:9], v[180:181], v[180:181], v[8:9]
	s_waitcnt vmcnt(0)
	v_fma_f64 v[190:191], v[100:101], v[8:9], v[184:185]
	v_mul_f64 v[8:9], v[182:183], v[176:177]
	s_delay_alu instid0(VALU_DEP_1) | instskip(NEXT) | instid1(VALU_DEP_1)
	v_fma_f64 v[8:9], v[178:179], v[174:175], v[8:9]
	v_fma_f64 v[8:9], v[180:181], v[6:7], v[8:9]
	s_delay_alu instid0(VALU_DEP_1) | instskip(SKIP_2) | instid1(VALU_DEP_3)
	v_fma_f64 v[8:9], v[100:101], v[8:9], v[186:187]
	v_mov_b32_e32 v10, v12
	v_dual_mov_b32 v11, v13 :: v_dual_mov_b32 v12, v14
	v_dual_mov_b32 v13, v15 :: v_dual_mov_b32 v12, v8
	s_delay_alu instid0(VALU_DEP_4) | instskip(SKIP_3) | instid1(VALU_DEP_1)
	v_mov_b32_e32 v13, v9
	scratch_store_b128 off, v[10:13], off offset:1024
	scratch_load_b64 v[12:13], off, off offset:952
	v_mul_f64 v[10:11], v[182:183], v[4:5]
	v_fma_f64 v[10:11], v[178:179], v[0:1], v[10:11]
	s_delay_alu instid0(VALU_DEP_1)
	v_fma_f64 v[10:11], v[180:181], v[2:3], v[10:11]
	scratch_load_b128 v[178:181], off, off offset:80
	s_waitcnt vmcnt(1)
	v_fma_f64 v[10:11], v[100:101], v[10:11], v[12:13]
	scratch_store_b128 off, v[8:11], off offset:944
	v_dual_mov_b32 v8, v14 :: v_dual_mov_b32 v9, v15
	scratch_store_b128 off, v[8:11], off offset:1120
	v_mul_f64 v[8:9], v[176:177], v[176:177]
	s_delay_alu instid0(VALU_DEP_1) | instskip(NEXT) | instid1(VALU_DEP_1)
	v_fma_f64 v[8:9], v[174:175], v[174:175], v[8:9]
	v_fma_f64 v[12:13], v[6:7], v[6:7], v[8:9]
	scratch_load_b128 v[8:11], off, off offset:1040
	s_waitcnt vmcnt(0)
	v_fma_f64 v[8:9], v[100:101], v[12:13], v[8:9]
	v_mul_f64 v[12:13], v[176:177], v[4:5]
	v_mul_f64 v[4:5], v[4:5], v[4:5]
	s_delay_alu instid0(VALU_DEP_2) | instskip(NEXT) | instid1(VALU_DEP_2)
	v_fma_f64 v[12:13], v[174:175], v[0:1], v[12:13]
	v_fma_f64 v[0:1], v[0:1], v[0:1], v[4:5]
	scratch_load_b128 v[174:177], off, off offset:64
	v_fma_f64 v[6:7], v[6:7], v[2:3], v[12:13]
	v_fma_f64 v[0:1], v[2:3], v[2:3], v[0:1]
	scratch_load_b64 v[2:3], off, off offset:1144
	v_fma_f64 v[10:11], v[100:101], v[6:7], v[10:11]
	s_waitcnt vmcnt(0)
	v_fma_f64 v[2:3], v[100:101], v[0:1], v[2:3]
	s_delay_alu instid0(VALU_DEP_2) | instskip(SKIP_4) | instid1(VALU_DEP_1)
	v_dual_mov_b32 v0, v10 :: v_dual_mov_b32 v1, v11
	scratch_store_b128 off, v[8:11], off offset:1040
	scratch_load_b128 v[8:11], off, off offset:32
	scratch_store_b128 off, v[0:3], off offset:1136
	v_mul_f64 v[0:1], v[172:173], v[172:173]
	v_fma_f64 v[0:1], v[168:169], v[168:169], v[0:1]
	s_delay_alu instid0(VALU_DEP_1) | instskip(SKIP_4) | instid1(VALU_DEP_1)
	v_fma_f64 v[4:5], v[170:171], v[170:171], v[0:1]
	scratch_load_b128 v[0:3], off, off
	s_waitcnt vmcnt(0)
	v_fma_f64 v[0:1], v[100:101], v[4:5], v[0:1]
	v_mul_f64 v[4:5], v[172:173], v[164:165]
	v_fma_f64 v[4:5], v[168:169], v[162:163], v[4:5]
	s_delay_alu instid0(VALU_DEP_1) | instskip(NEXT) | instid1(VALU_DEP_1)
	v_fma_f64 v[4:5], v[170:171], v[166:167], v[4:5]
	v_fma_f64 v[2:3], v[100:101], v[4:5], v[2:3]
	scratch_load_b128 v[4:7], off, off offset:16
	scratch_store_b128 off, v[250:253], off offset:48
	scratch_load_b128 v[12:15], off, off offset:48
	scratch_store_b128 off, v[0:3], off
	v_mul_f64 v[0:1], v[172:173], v[160:161]
	v_dual_mov_b32 v182, v2 :: v_dual_mov_b32 v183, v3
	s_delay_alu instid0(VALU_DEP_2) | instskip(NEXT) | instid1(VALU_DEP_1)
	v_fma_f64 v[0:1], v[168:169], v[156:157], v[0:1]
	v_fma_f64 v[0:1], v[170:171], v[158:159], v[0:1]
	s_waitcnt vmcnt(1)
	s_delay_alu instid0(VALU_DEP_1) | instskip(SKIP_1) | instid1(VALU_DEP_1)
	v_fma_f64 v[4:5], v[100:101], v[0:1], v[4:5]
	v_mul_f64 v[0:1], v[172:173], v[152:153]
	v_fma_f64 v[0:1], v[168:169], v[150:151], v[0:1]
	s_delay_alu instid0(VALU_DEP_1) | instskip(NEXT) | instid1(VALU_DEP_1)
	v_fma_f64 v[0:1], v[170:171], v[154:155], v[0:1]
	v_fma_f64 v[6:7], v[100:101], v[0:1], v[6:7]
	v_mul_f64 v[0:1], v[172:173], v[148:149]
	s_delay_alu instid0(VALU_DEP_1) | instskip(NEXT) | instid1(VALU_DEP_1)
	v_fma_f64 v[0:1], v[168:169], v[144:145], v[0:1]
	v_fma_f64 v[0:1], v[170:171], v[146:147], v[0:1]
	s_delay_alu instid0(VALU_DEP_1) | instskip(SKIP_1) | instid1(VALU_DEP_1)
	v_fma_f64 v[8:9], v[100:101], v[0:1], v[8:9]
	v_mul_f64 v[0:1], v[172:173], v[140:141]
	v_fma_f64 v[0:1], v[168:169], v[138:139], v[0:1]
	s_delay_alu instid0(VALU_DEP_1) | instskip(NEXT) | instid1(VALU_DEP_1)
	v_fma_f64 v[0:1], v[170:171], v[142:143], v[0:1]
	v_fma_f64 v[10:11], v[100:101], v[0:1], v[10:11]
	v_mul_f64 v[0:1], v[172:173], v[136:137]
	s_clause 0x1
	scratch_store_b128 off, v[4:7], off offset:16
	scratch_store_b128 off, v[8:11], off offset:32
	v_fma_f64 v[0:1], v[168:169], v[132:133], v[0:1]
	s_delay_alu instid0(VALU_DEP_1) | instskip(SKIP_1) | instid1(VALU_DEP_1)
	v_fma_f64 v[0:1], v[170:171], v[134:135], v[0:1]
	s_waitcnt vmcnt(0)
	v_fma_f64 v[12:13], v[100:101], v[0:1], v[12:13]
	v_mul_f64 v[0:1], v[172:173], v[128:129]
	s_delay_alu instid0(VALU_DEP_1) | instskip(NEXT) | instid1(VALU_DEP_1)
	v_fma_f64 v[0:1], v[168:169], v[126:127], v[0:1]
	v_fma_f64 v[0:1], v[170:171], v[130:131], v[0:1]
	s_delay_alu instid0(VALU_DEP_1) | instskip(SKIP_1) | instid1(VALU_DEP_1)
	v_fma_f64 v[14:15], v[100:101], v[0:1], v[14:15]
	v_mul_f64 v[0:1], v[172:173], v[124:125]
	v_fma_f64 v[0:1], v[168:169], v[120:121], v[0:1]
	s_delay_alu instid0(VALU_DEP_1) | instskip(NEXT) | instid1(VALU_DEP_1)
	v_fma_f64 v[0:1], v[170:171], v[122:123], v[0:1]
	v_fma_f64 v[174:175], v[100:101], v[0:1], v[174:175]
	v_mul_f64 v[0:1], v[172:173], v[116:117]
	s_delay_alu instid0(VALU_DEP_1) | instskip(NEXT) | instid1(VALU_DEP_1)
	v_fma_f64 v[0:1], v[168:169], v[114:115], v[0:1]
	v_fma_f64 v[0:1], v[170:171], v[118:119], v[0:1]
	s_delay_alu instid0(VALU_DEP_1)
	v_fma_f64 v[176:177], v[100:101], v[0:1], v[176:177]
	v_mul_f64 v[0:1], v[172:173], v[112:113]
	s_clause 0x1
	scratch_store_b128 off, v[12:15], off offset:48
	scratch_store_b128 off, v[174:177], off offset:64
	v_fma_f64 v[0:1], v[168:169], v[104:105], v[0:1]
	s_delay_alu instid0(VALU_DEP_1) | instskip(NEXT) | instid1(VALU_DEP_1)
	v_fma_f64 v[0:1], v[170:171], v[106:107], v[0:1]
	v_fma_f64 v[178:179], v[100:101], v[0:1], v[178:179]
	v_mul_f64 v[0:1], v[172:173], v[108:109]
	s_delay_alu instid0(VALU_DEP_1) | instskip(NEXT) | instid1(VALU_DEP_1)
	v_fma_f64 v[0:1], v[168:169], v[102:103], v[0:1]
	v_fma_f64 v[0:1], v[170:171], v[110:111], v[0:1]
	scratch_load_b128 v[168:171], off, off offset:104
	v_fma_f64 v[180:181], v[100:101], v[0:1], v[180:181]
	v_mul_f64 v[0:1], v[164:165], v[164:165]
	s_delay_alu instid0(VALU_DEP_1) | instskip(NEXT) | instid1(VALU_DEP_1)
	v_fma_f64 v[0:1], v[162:163], v[162:163], v[0:1]
	v_fma_f64 v[0:1], v[166:167], v[166:167], v[0:1]
	s_waitcnt vmcnt(0)
	s_delay_alu instid0(VALU_DEP_1)
	v_fma_f64 v[184:185], v[100:101], v[0:1], v[168:169]
	v_mul_f64 v[0:1], v[164:165], v[160:161]
	s_clause 0x1
	scratch_store_b128 off, v[178:181], off offset:80
	scratch_store_b128 off, v[182:185], off offset:96
	v_fma_f64 v[0:1], v[162:163], v[156:157], v[0:1]
	s_delay_alu instid0(VALU_DEP_1) | instskip(NEXT) | instid1(VALU_DEP_1)
	v_fma_f64 v[0:1], v[166:167], v[158:159], v[0:1]
	v_fma_f64 v[0:1], v[100:101], v[0:1], v[170:171]
	v_mov_b32_e32 v2, v4
	v_dual_mov_b32 v3, v5 :: v_dual_mov_b32 v4, v6
	s_delay_alu instid0(VALU_DEP_3) | instskip(NEXT) | instid1(VALU_DEP_4)
	v_dual_mov_b32 v5, v7 :: v_dual_mov_b32 v4, v0
	v_mov_b32_e32 v5, v1
	s_clause 0x1
	scratch_store_b128 off, v[218:221], off offset:464
	scratch_store_b128 off, v[2:5], off offset:192
	v_mul_f64 v[2:3], v[164:165], v[152:153]
	s_delay_alu instid0(VALU_DEP_1) | instskip(NEXT) | instid1(VALU_DEP_1)
	v_fma_f64 v[2:3], v[162:163], v[150:151], v[2:3]
	v_fma_f64 v[168:169], v[166:167], v[154:155], v[2:3]
	scratch_load_b128 v[2:5], off, off offset:120
	s_waitcnt vmcnt(0)
	v_fma_f64 v[2:3], v[100:101], v[168:169], v[2:3]
	s_clause 0x1
	scratch_store_b128 off, v[226:229], off offset:240
	scratch_store_b128 off, v[0:3], off offset:112
	v_dual_mov_b32 v0, v6 :: v_dual_mov_b32 v1, v7
	s_clause 0x1
	scratch_store_b128 off, v[202:205], off offset:656
	scratch_store_b128 off, v[0:3], off offset:288
	v_mul_f64 v[0:1], v[164:165], v[148:149]
	s_delay_alu instid0(VALU_DEP_1) | instskip(NEXT) | instid1(VALU_DEP_1)
	v_fma_f64 v[0:1], v[162:163], v[144:145], v[0:1]
	v_fma_f64 v[0:1], v[166:167], v[146:147], v[0:1]
	s_delay_alu instid0(VALU_DEP_1) | instskip(SKIP_2) | instid1(VALU_DEP_3)
	v_fma_f64 v[0:1], v[100:101], v[0:1], v[4:5]
	v_dual_mov_b32 v2, v8 :: v_dual_mov_b32 v3, v9
	v_dual_mov_b32 v4, v10 :: v_dual_mov_b32 v5, v11
	v_dual_mov_b32 v4, v0 :: v_dual_mov_b32 v5, v1
	scratch_store_b128 off, v[2:5], off offset:384
	v_mul_f64 v[2:3], v[164:165], v[140:141]
	s_delay_alu instid0(VALU_DEP_1) | instskip(NEXT) | instid1(VALU_DEP_1)
	v_fma_f64 v[2:3], v[162:163], v[138:139], v[2:3]
	v_fma_f64 v[6:7], v[166:167], v[142:143], v[2:3]
	scratch_load_b128 v[2:5], off, off offset:136
	s_waitcnt vmcnt(0)
	v_fma_f64 v[2:3], v[100:101], v[6:7], v[2:3]
	s_clause 0x1
	scratch_store_b128 off, v[230:233], off offset:256
	scratch_store_b128 off, v[0:3], off offset:128
	v_dual_mov_b32 v0, v10 :: v_dual_mov_b32 v1, v11
	scratch_store_b128 off, v[0:3], off offset:480
	v_mul_f64 v[0:1], v[164:165], v[136:137]
	s_delay_alu instid0(VALU_DEP_1) | instskip(NEXT) | instid1(VALU_DEP_1)
	v_fma_f64 v[0:1], v[162:163], v[132:133], v[0:1]
	v_fma_f64 v[0:1], v[166:167], v[134:135], v[0:1]
	s_delay_alu instid0(VALU_DEP_1) | instskip(SKIP_2) | instid1(VALU_DEP_3)
	v_fma_f64 v[0:1], v[100:101], v[0:1], v[4:5]
	v_dual_mov_b32 v2, v12 :: v_dual_mov_b32 v3, v13
	v_dual_mov_b32 v4, v14 :: v_dual_mov_b32 v5, v15
	v_dual_mov_b32 v4, v0 :: v_dual_mov_b32 v5, v1
	scratch_store_b128 off, v[2:5], off offset:576
	v_mul_f64 v[2:3], v[164:165], v[128:129]
	s_delay_alu instid0(VALU_DEP_1) | instskip(NEXT) | instid1(VALU_DEP_1)
	v_fma_f64 v[2:3], v[162:163], v[126:127], v[2:3]
	v_fma_f64 v[6:7], v[166:167], v[130:131], v[2:3]
	scratch_load_b128 v[2:5], off, off offset:152
	s_waitcnt vmcnt(0)
	v_fma_f64 v[2:3], v[100:101], v[6:7], v[2:3]
	s_clause 0x1
	scratch_store_b128 off, v[234:237], off offset:272
	scratch_store_b128 off, v[0:3], off offset:144
	v_dual_mov_b32 v0, v14 :: v_dual_mov_b32 v1, v15
	;; [unrolled: 22-line block ×3, first 2 shown]
	scratch_store_b128 off, v[0:3], off offset:864
	v_mul_f64 v[0:1], v[164:165], v[112:113]
	s_delay_alu instid0(VALU_DEP_1) | instskip(NEXT) | instid1(VALU_DEP_1)
	v_fma_f64 v[0:1], v[162:163], v[104:105], v[0:1]
	v_fma_f64 v[0:1], v[166:167], v[106:107], v[0:1]
	s_delay_alu instid0(VALU_DEP_1) | instskip(SKIP_2) | instid1(VALU_DEP_3)
	v_fma_f64 v[0:1], v[100:101], v[0:1], v[4:5]
	v_dual_mov_b32 v2, v178 :: v_dual_mov_b32 v3, v179
	v_dual_mov_b32 v4, v180 :: v_dual_mov_b32 v5, v181
	;; [unrolled: 1-line block ×3, first 2 shown]
	scratch_store_b128 off, v[2:5], off offset:960
	scratch_load_b64 v[4:5], off, off offset:184
	v_mul_f64 v[2:3], v[164:165], v[108:109]
	s_delay_alu instid0(VALU_DEP_1) | instskip(SKIP_3) | instid1(VALU_DEP_1)
	v_fma_f64 v[2:3], v[162:163], v[102:103], v[2:3]
	scratch_load_b128 v[162:165], off, off offset:272
	v_fma_f64 v[2:3], v[166:167], v[110:111], v[2:3]
	s_waitcnt vmcnt(1)
	v_fma_f64 v[2:3], v[100:101], v[2:3], v[4:5]
	s_clause 0x1
	scratch_store_b128 off, v[214:217], off offset:448
	scratch_store_b128 off, v[0:3], off offset:176
	v_dual_mov_b32 v0, v180 :: v_dual_mov_b32 v1, v181
	scratch_store_b128 off, v[0:3], off offset:1056
	scratch_load_b128 v[2:5], off, off offset:208
	v_mul_f64 v[0:1], v[160:161], v[160:161]
	s_delay_alu instid0(VALU_DEP_1) | instskip(NEXT) | instid1(VALU_DEP_1)
	v_fma_f64 v[0:1], v[156:157], v[156:157], v[0:1]
	v_fma_f64 v[0:1], v[158:159], v[158:159], v[0:1]
	s_waitcnt vmcnt(0)
	s_delay_alu instid0(VALU_DEP_1) | instskip(SKIP_1) | instid1(VALU_DEP_1)
	v_fma_f64 v[2:3], v[100:101], v[0:1], v[2:3]
	v_mul_f64 v[0:1], v[160:161], v[152:153]
	v_fma_f64 v[0:1], v[156:157], v[150:151], v[0:1]
	s_delay_alu instid0(VALU_DEP_1) | instskip(NEXT) | instid1(VALU_DEP_1)
	v_fma_f64 v[0:1], v[158:159], v[154:155], v[0:1]
	v_fma_f64 v[4:5], v[100:101], v[0:1], v[4:5]
	v_mul_f64 v[0:1], v[160:161], v[148:149]
	s_clause 0x1
	scratch_store_b128 off, v[222:225], off offset:512
	scratch_store_b128 off, v[2:5], off offset:208
	v_fma_f64 v[0:1], v[156:157], v[144:145], v[0:1]
	v_dual_mov_b32 v166, v4 :: v_dual_mov_b32 v167, v5
	v_mul_f64 v[4:5], v[152:153], v[148:149]
	s_delay_alu instid0(VALU_DEP_3) | instskip(SKIP_2) | instid1(VALU_DEP_1)
	v_fma_f64 v[6:7], v[158:159], v[146:147], v[0:1]
	scratch_load_b128 v[0:3], off, off offset:224
	v_fma_f64 v[4:5], v[150:151], v[144:145], v[4:5]
	v_fma_f64 v[4:5], v[154:155], v[146:147], v[4:5]
	s_waitcnt vmcnt(0)
	v_fma_f64 v[0:1], v[100:101], v[6:7], v[0:1]
	v_mul_f64 v[6:7], v[160:161], v[140:141]
	s_delay_alu instid0(VALU_DEP_1) | instskip(NEXT) | instid1(VALU_DEP_1)
	v_fma_f64 v[6:7], v[156:157], v[138:139], v[6:7]
	v_fma_f64 v[6:7], v[158:159], v[142:143], v[6:7]
	s_delay_alu instid0(VALU_DEP_1) | instskip(SKIP_1) | instid1(VALU_DEP_1)
	v_fma_f64 v[2:3], v[100:101], v[6:7], v[2:3]
	v_mul_f64 v[6:7], v[160:161], v[136:137]
	v_fma_f64 v[6:7], v[156:157], v[132:133], v[6:7]
	s_delay_alu instid0(VALU_DEP_1) | instskip(SKIP_4) | instid1(VALU_DEP_1)
	v_fma_f64 v[10:11], v[158:159], v[134:135], v[6:7]
	scratch_load_b128 v[6:9], off, off offset:240
	s_waitcnt vmcnt(0)
	v_fma_f64 v[6:7], v[100:101], v[10:11], v[6:7]
	v_mul_f64 v[10:11], v[160:161], v[128:129]
	v_fma_f64 v[10:11], v[156:157], v[126:127], v[10:11]
	s_delay_alu instid0(VALU_DEP_1) | instskip(NEXT) | instid1(VALU_DEP_1)
	v_fma_f64 v[10:11], v[158:159], v[130:131], v[10:11]
	v_fma_f64 v[8:9], v[100:101], v[10:11], v[8:9]
	v_mul_f64 v[10:11], v[160:161], v[124:125]
	s_clause 0x1
	scratch_store_b128 off, v[0:3], off offset:224
	scratch_store_b128 off, v[6:9], off offset:240
	v_fma_f64 v[10:11], v[156:157], v[120:121], v[10:11]
	s_delay_alu instid0(VALU_DEP_1) | instskip(SKIP_4) | instid1(VALU_DEP_1)
	v_fma_f64 v[14:15], v[158:159], v[122:123], v[10:11]
	scratch_load_b128 v[10:13], off, off offset:256
	s_waitcnt vmcnt(0)
	v_fma_f64 v[10:11], v[100:101], v[14:15], v[10:11]
	v_mul_f64 v[14:15], v[160:161], v[116:117]
	v_fma_f64 v[14:15], v[156:157], v[114:115], v[14:15]
	s_delay_alu instid0(VALU_DEP_1) | instskip(NEXT) | instid1(VALU_DEP_1)
	v_fma_f64 v[14:15], v[158:159], v[118:119], v[14:15]
	v_fma_f64 v[12:13], v[100:101], v[14:15], v[12:13]
	v_mul_f64 v[14:15], v[160:161], v[112:113]
	s_delay_alu instid0(VALU_DEP_1) | instskip(NEXT) | instid1(VALU_DEP_1)
	v_fma_f64 v[14:15], v[156:157], v[104:105], v[14:15]
	v_fma_f64 v[14:15], v[158:159], v[106:107], v[14:15]
	s_delay_alu instid0(VALU_DEP_1) | instskip(SKIP_1) | instid1(VALU_DEP_1)
	v_fma_f64 v[162:163], v[100:101], v[14:15], v[162:163]
	v_mul_f64 v[14:15], v[160:161], v[108:109]
	v_fma_f64 v[14:15], v[156:157], v[102:103], v[14:15]
	s_delay_alu instid0(VALU_DEP_1)
	v_fma_f64 v[14:15], v[158:159], v[110:111], v[14:15]
	scratch_load_b128 v[156:159], off, off offset:312
	v_fma_f64 v[164:165], v[100:101], v[14:15], v[164:165]
	v_mul_f64 v[14:15], v[152:153], v[152:153]
	s_clause 0x1
	scratch_store_b128 off, v[10:13], off offset:256
	scratch_store_b128 off, v[162:165], off offset:272
	v_fma_f64 v[14:15], v[150:151], v[150:151], v[14:15]
	s_delay_alu instid0(VALU_DEP_1) | instskip(SKIP_1) | instid1(VALU_DEP_1)
	v_fma_f64 v[14:15], v[154:155], v[154:155], v[14:15]
	s_waitcnt vmcnt(0)
	v_fma_f64 v[168:169], v[100:101], v[14:15], v[156:157]
	v_fma_f64 v[156:157], v[100:101], v[4:5], v[158:159]
	v_dual_mov_b32 v161, v3 :: v_dual_mov_b32 v160, v2
	v_dual_mov_b32 v159, v1 :: v_dual_mov_b32 v158, v0
	v_mul_f64 v[0:1], v[152:153], v[140:141]
	s_delay_alu instid0(VALU_DEP_4) | instskip(NEXT) | instid1(VALU_DEP_2)
	v_dual_mov_b32 v160, v156 :: v_dual_mov_b32 v161, v157
	v_fma_f64 v[0:1], v[150:151], v[138:139], v[0:1]
	scratch_store_b128 off, v[158:161], off offset:400
	scratch_load_b128 v[158:161], off, off offset:328
	v_fma_f64 v[0:1], v[154:155], v[142:143], v[0:1]
	s_waitcnt vmcnt(0)
	s_delay_alu instid0(VALU_DEP_1)
	v_fma_f64 v[158:159], v[100:101], v[0:1], v[158:159]
	v_mul_f64 v[0:1], v[152:153], v[136:137]
	s_clause 0x1
	scratch_store_b128 off, v[166:169], off offset:304
	scratch_store_b128 off, v[156:159], off offset:320
	v_fma_f64 v[0:1], v[150:151], v[132:133], v[0:1]
	v_dual_mov_b32 v156, v2 :: v_dual_mov_b32 v157, v3
	v_dual_mov_b32 v2, v6 :: v_dual_mov_b32 v3, v7
	;; [unrolled: 1-line block ×3, first 2 shown]
	s_delay_alu instid0(VALU_DEP_4) | instskip(NEXT) | instid1(VALU_DEP_1)
	v_fma_f64 v[0:1], v[154:155], v[134:135], v[0:1]
	v_fma_f64 v[0:1], v[100:101], v[0:1], v[160:161]
	s_delay_alu instid0(VALU_DEP_1) | instskip(SKIP_2) | instid1(VALU_DEP_1)
	v_dual_mov_b32 v4, v0 :: v_dual_mov_b32 v5, v1
	scratch_store_b128 off, v[2:5], off offset:592
	v_mul_f64 v[2:3], v[152:153], v[128:129]
	v_fma_f64 v[2:3], v[150:151], v[126:127], v[2:3]
	s_delay_alu instid0(VALU_DEP_1)
	v_fma_f64 v[6:7], v[154:155], v[130:131], v[2:3]
	scratch_load_b128 v[2:5], off, off offset:344
	s_waitcnt vmcnt(0)
	v_fma_f64 v[2:3], v[100:101], v[6:7], v[2:3]
	s_clause 0x1
	scratch_store_b128 off, v[156:159], off offset:496
	scratch_store_b128 off, v[0:3], off offset:336
	v_dual_mov_b32 v0, v8 :: v_dual_mov_b32 v1, v9
	scratch_store_b128 off, v[0:3], off offset:688
	v_mul_f64 v[0:1], v[152:153], v[124:125]
	s_delay_alu instid0(VALU_DEP_1) | instskip(NEXT) | instid1(VALU_DEP_1)
	v_fma_f64 v[0:1], v[150:151], v[120:121], v[0:1]
	v_fma_f64 v[0:1], v[154:155], v[122:123], v[0:1]
	s_delay_alu instid0(VALU_DEP_1)
	v_fma_f64 v[0:1], v[100:101], v[0:1], v[4:5]
	v_dual_mov_b32 v2, v10 :: v_dual_mov_b32 v3, v11
	v_dual_mov_b32 v4, v12 :: v_dual_mov_b32 v5, v13
	scratch_load_b128 v[8:11], off, off offset:448
	v_dual_mov_b32 v4, v0 :: v_dual_mov_b32 v5, v1
	scratch_store_b128 off, v[2:5], off offset:784
	v_mul_f64 v[2:3], v[152:153], v[116:117]
	s_delay_alu instid0(VALU_DEP_1) | instskip(NEXT) | instid1(VALU_DEP_1)
	v_fma_f64 v[2:3], v[150:151], v[114:115], v[2:3]
	v_fma_f64 v[6:7], v[154:155], v[118:119], v[2:3]
	scratch_load_b128 v[2:5], off, off offset:360
	s_waitcnt vmcnt(0)
	v_fma_f64 v[2:3], v[100:101], v[6:7], v[2:3]
	s_clause 0x1
	scratch_store_b128 off, v[206:209], off offset:720
	scratch_store_b128 off, v[0:3], off offset:352
	v_dual_mov_b32 v0, v12 :: v_dual_mov_b32 v1, v13
	scratch_load_b128 v[12:15], off, off offset:464
	scratch_store_b128 off, v[0:3], off offset:880
	v_mul_f64 v[0:1], v[152:153], v[112:113]
	s_delay_alu instid0(VALU_DEP_1) | instskip(NEXT) | instid1(VALU_DEP_1)
	v_fma_f64 v[0:1], v[150:151], v[104:105], v[0:1]
	v_fma_f64 v[0:1], v[154:155], v[106:107], v[0:1]
	s_delay_alu instid0(VALU_DEP_1) | instskip(SKIP_2) | instid1(VALU_DEP_3)
	v_fma_f64 v[0:1], v[100:101], v[0:1], v[4:5]
	v_dual_mov_b32 v2, v162 :: v_dual_mov_b32 v3, v163
	v_dual_mov_b32 v4, v164 :: v_dual_mov_b32 v5, v165
	;; [unrolled: 1-line block ×3, first 2 shown]
	scratch_store_b128 off, v[2:5], off offset:976
	scratch_load_b64 v[4:5], off, off offset:376
	v_mul_f64 v[2:3], v[152:153], v[108:109]
	s_delay_alu instid0(VALU_DEP_1) | instskip(NEXT) | instid1(VALU_DEP_1)
	v_fma_f64 v[2:3], v[150:151], v[102:103], v[2:3]
	v_fma_f64 v[2:3], v[154:155], v[110:111], v[2:3]
	s_waitcnt vmcnt(0)
	s_delay_alu instid0(VALU_DEP_1)
	v_fma_f64 v[2:3], v[100:101], v[2:3], v[4:5]
	s_clause 0x1
	scratch_store_b128 off, v[188:191], off offset:928
	scratch_store_b128 off, v[0:3], off offset:368
	v_dual_mov_b32 v0, v164 :: v_dual_mov_b32 v1, v165
	scratch_store_b128 off, v[0:3], off offset:1072
	v_mul_f64 v[0:1], v[148:149], v[148:149]
	s_delay_alu instid0(VALU_DEP_1) | instskip(NEXT) | instid1(VALU_DEP_1)
	v_fma_f64 v[0:1], v[144:145], v[144:145], v[0:1]
	v_fma_f64 v[4:5], v[146:147], v[146:147], v[0:1]
	scratch_load_b128 v[0:3], off, off offset:416
	s_waitcnt vmcnt(0)
	v_fma_f64 v[0:1], v[100:101], v[4:5], v[0:1]
	v_mul_f64 v[4:5], v[148:149], v[140:141]
	s_delay_alu instid0(VALU_DEP_1) | instskip(NEXT) | instid1(VALU_DEP_1)
	v_fma_f64 v[4:5], v[144:145], v[138:139], v[4:5]
	v_fma_f64 v[4:5], v[146:147], v[142:143], v[4:5]
	s_delay_alu instid0(VALU_DEP_1) | instskip(SKIP_3) | instid1(VALU_DEP_1)
	v_fma_f64 v[2:3], v[100:101], v[4:5], v[2:3]
	scratch_load_b128 v[4:7], off, off offset:432
	scratch_store_b128 off, v[0:3], off offset:416
	v_mul_f64 v[0:1], v[148:149], v[136:137]
	v_fma_f64 v[0:1], v[144:145], v[132:133], v[0:1]
	s_delay_alu instid0(VALU_DEP_1) | instskip(SKIP_1) | instid1(VALU_DEP_1)
	v_fma_f64 v[0:1], v[146:147], v[134:135], v[0:1]
	s_waitcnt vmcnt(0)
	v_fma_f64 v[4:5], v[100:101], v[0:1], v[4:5]
	v_mul_f64 v[0:1], v[148:149], v[128:129]
	s_delay_alu instid0(VALU_DEP_1) | instskip(NEXT) | instid1(VALU_DEP_1)
	v_fma_f64 v[0:1], v[144:145], v[126:127], v[0:1]
	v_fma_f64 v[0:1], v[146:147], v[130:131], v[0:1]
	s_delay_alu instid0(VALU_DEP_1) | instskip(SKIP_1) | instid1(VALU_DEP_1)
	v_fma_f64 v[6:7], v[100:101], v[0:1], v[6:7]
	v_mul_f64 v[0:1], v[148:149], v[124:125]
	v_fma_f64 v[0:1], v[144:145], v[120:121], v[0:1]
	s_delay_alu instid0(VALU_DEP_1) | instskip(NEXT) | instid1(VALU_DEP_1)
	v_fma_f64 v[0:1], v[146:147], v[122:123], v[0:1]
	v_fma_f64 v[8:9], v[100:101], v[0:1], v[8:9]
	v_mul_f64 v[0:1], v[148:149], v[116:117]
	s_delay_alu instid0(VALU_DEP_1) | instskip(NEXT) | instid1(VALU_DEP_1)
	v_fma_f64 v[0:1], v[144:145], v[114:115], v[0:1]
	v_fma_f64 v[0:1], v[146:147], v[118:119], v[0:1]
	s_delay_alu instid0(VALU_DEP_1)
	v_fma_f64 v[10:11], v[100:101], v[0:1], v[10:11]
	v_mul_f64 v[0:1], v[148:149], v[112:113]
	s_clause 0x1
	scratch_store_b128 off, v[4:7], off offset:432
	scratch_store_b128 off, v[8:11], off offset:448
	v_fma_f64 v[0:1], v[144:145], v[104:105], v[0:1]
	s_delay_alu instid0(VALU_DEP_1) | instskip(NEXT) | instid1(VALU_DEP_1)
	v_fma_f64 v[0:1], v[146:147], v[106:107], v[0:1]
	v_fma_f64 v[12:13], v[100:101], v[0:1], v[12:13]
	v_mul_f64 v[0:1], v[148:149], v[108:109]
	v_dual_mov_b32 v148, v2 :: v_dual_mov_b32 v149, v3
	s_delay_alu instid0(VALU_DEP_2) | instskip(NEXT) | instid1(VALU_DEP_1)
	v_fma_f64 v[0:1], v[144:145], v[102:103], v[0:1]
	v_fma_f64 v[0:1], v[146:147], v[110:111], v[0:1]
	scratch_load_b128 v[144:147], off, off offset:520
	v_fma_f64 v[14:15], v[100:101], v[0:1], v[14:15]
	v_mul_f64 v[0:1], v[140:141], v[140:141]
	s_delay_alu instid0(VALU_DEP_1) | instskip(NEXT) | instid1(VALU_DEP_1)
	v_fma_f64 v[0:1], v[138:139], v[138:139], v[0:1]
	v_fma_f64 v[0:1], v[142:143], v[142:143], v[0:1]
	s_waitcnt vmcnt(0)
	s_delay_alu instid0(VALU_DEP_1)
	v_fma_f64 v[150:151], v[100:101], v[0:1], v[144:145]
	v_mul_f64 v[0:1], v[140:141], v[136:137]
	s_clause 0x1
	scratch_store_b128 off, v[12:15], off offset:464
	scratch_store_b128 off, v[148:151], off offset:512
	v_fma_f64 v[0:1], v[138:139], v[132:133], v[0:1]
	s_delay_alu instid0(VALU_DEP_1) | instskip(NEXT) | instid1(VALU_DEP_1)
	v_fma_f64 v[0:1], v[142:143], v[134:135], v[0:1]
	v_fma_f64 v[0:1], v[100:101], v[0:1], v[146:147]
	v_mov_b32_e32 v2, v4
	v_dual_mov_b32 v3, v5 :: v_dual_mov_b32 v4, v6
	s_delay_alu instid0(VALU_DEP_3) | instskip(NEXT) | instid1(VALU_DEP_4)
	v_dual_mov_b32 v5, v7 :: v_dual_mov_b32 v4, v0
	v_mov_b32_e32 v5, v1
	scratch_store_b128 off, v[2:5], off offset:608
	v_mul_f64 v[2:3], v[140:141], v[128:129]
	s_delay_alu instid0(VALU_DEP_1) | instskip(NEXT) | instid1(VALU_DEP_1)
	v_fma_f64 v[2:3], v[138:139], v[126:127], v[2:3]
	v_fma_f64 v[144:145], v[142:143], v[130:131], v[2:3]
	scratch_load_b128 v[2:5], off, off offset:536
	s_waitcnt vmcnt(0)
	v_fma_f64 v[2:3], v[100:101], v[144:145], v[2:3]
	scratch_store_b128 off, v[0:3], off offset:528
	v_dual_mov_b32 v0, v6 :: v_dual_mov_b32 v1, v7
	scratch_store_b128 off, v[0:3], off offset:704
	v_mul_f64 v[0:1], v[140:141], v[124:125]
	s_delay_alu instid0(VALU_DEP_1) | instskip(NEXT) | instid1(VALU_DEP_1)
	v_fma_f64 v[0:1], v[138:139], v[120:121], v[0:1]
	v_fma_f64 v[0:1], v[142:143], v[122:123], v[0:1]
	s_delay_alu instid0(VALU_DEP_1) | instskip(SKIP_2) | instid1(VALU_DEP_3)
	v_fma_f64 v[0:1], v[100:101], v[0:1], v[4:5]
	v_dual_mov_b32 v2, v8 :: v_dual_mov_b32 v3, v9
	v_dual_mov_b32 v4, v10 :: v_dual_mov_b32 v5, v11
	;; [unrolled: 1-line block ×3, first 2 shown]
	scratch_store_b128 off, v[2:5], off offset:800
	v_mul_f64 v[2:3], v[140:141], v[116:117]
	s_delay_alu instid0(VALU_DEP_1) | instskip(NEXT) | instid1(VALU_DEP_1)
	v_fma_f64 v[2:3], v[138:139], v[114:115], v[2:3]
	v_fma_f64 v[6:7], v[142:143], v[118:119], v[2:3]
	scratch_load_b128 v[2:5], off, off offset:552
	s_waitcnt vmcnt(0)
	v_fma_f64 v[2:3], v[100:101], v[6:7], v[2:3]
	scratch_store_b128 off, v[0:3], off offset:544
	v_dual_mov_b32 v0, v10 :: v_dual_mov_b32 v1, v11
	scratch_load_b128 v[8:11], off, off offset:656
	scratch_store_b128 off, v[0:3], off offset:896
	v_mul_f64 v[0:1], v[140:141], v[112:113]
	s_delay_alu instid0(VALU_DEP_1) | instskip(NEXT) | instid1(VALU_DEP_1)
	v_fma_f64 v[0:1], v[138:139], v[104:105], v[0:1]
	v_fma_f64 v[0:1], v[142:143], v[106:107], v[0:1]
	s_delay_alu instid0(VALU_DEP_1) | instskip(SKIP_2) | instid1(VALU_DEP_3)
	v_fma_f64 v[0:1], v[100:101], v[0:1], v[4:5]
	v_dual_mov_b32 v2, v12 :: v_dual_mov_b32 v3, v13
	v_dual_mov_b32 v4, v14 :: v_dual_mov_b32 v5, v15
	;; [unrolled: 1-line block ×3, first 2 shown]
	scratch_store_b128 off, v[2:5], off offset:992
	scratch_load_b64 v[4:5], off, off offset:568
	v_mul_f64 v[2:3], v[140:141], v[108:109]
	s_delay_alu instid0(VALU_DEP_1) | instskip(NEXT) | instid1(VALU_DEP_1)
	v_fma_f64 v[2:3], v[138:139], v[102:103], v[2:3]
	v_fma_f64 v[2:3], v[142:143], v[110:111], v[2:3]
	s_waitcnt vmcnt(0)
	s_delay_alu instid0(VALU_DEP_1)
	v_fma_f64 v[2:3], v[100:101], v[2:3], v[4:5]
	scratch_store_b128 off, v[0:3], off offset:560
	v_dual_mov_b32 v0, v14 :: v_dual_mov_b32 v1, v15
	scratch_load_b128 v[12:15], off, off offset:728
	scratch_store_b128 off, v[0:3], off offset:1088
	v_mul_f64 v[0:1], v[136:137], v[136:137]
	s_delay_alu instid0(VALU_DEP_1) | instskip(NEXT) | instid1(VALU_DEP_1)
	v_fma_f64 v[0:1], v[132:133], v[132:133], v[0:1]
	v_fma_f64 v[4:5], v[134:135], v[134:135], v[0:1]
	scratch_load_b128 v[0:3], off, off offset:624
	s_waitcnt vmcnt(0)
	v_fma_f64 v[0:1], v[100:101], v[4:5], v[0:1]
	v_mul_f64 v[4:5], v[136:137], v[128:129]
	s_delay_alu instid0(VALU_DEP_1) | instskip(NEXT) | instid1(VALU_DEP_1)
	v_fma_f64 v[4:5], v[132:133], v[126:127], v[4:5]
	v_fma_f64 v[4:5], v[134:135], v[130:131], v[4:5]
	s_delay_alu instid0(VALU_DEP_1) | instskip(SKIP_3) | instid1(VALU_DEP_1)
	v_fma_f64 v[2:3], v[100:101], v[4:5], v[2:3]
	scratch_load_b128 v[4:7], off, off offset:640
	scratch_store_b128 off, v[0:3], off offset:624
	v_mul_f64 v[0:1], v[136:137], v[124:125]
	v_fma_f64 v[0:1], v[132:133], v[120:121], v[0:1]
	s_delay_alu instid0(VALU_DEP_1) | instskip(SKIP_1) | instid1(VALU_DEP_1)
	v_fma_f64 v[0:1], v[134:135], v[122:123], v[0:1]
	s_waitcnt vmcnt(0)
	v_fma_f64 v[4:5], v[100:101], v[0:1], v[4:5]
	v_mul_f64 v[0:1], v[136:137], v[116:117]
	s_delay_alu instid0(VALU_DEP_1) | instskip(NEXT) | instid1(VALU_DEP_1)
	v_fma_f64 v[0:1], v[132:133], v[114:115], v[0:1]
	v_fma_f64 v[0:1], v[134:135], v[118:119], v[0:1]
	s_delay_alu instid0(VALU_DEP_1) | instskip(SKIP_1) | instid1(VALU_DEP_1)
	v_fma_f64 v[6:7], v[100:101], v[0:1], v[6:7]
	v_mul_f64 v[0:1], v[136:137], v[112:113]
	v_fma_f64 v[0:1], v[132:133], v[104:105], v[0:1]
	s_delay_alu instid0(VALU_DEP_1) | instskip(NEXT) | instid1(VALU_DEP_1)
	v_fma_f64 v[0:1], v[134:135], v[106:107], v[0:1]
	v_fma_f64 v[8:9], v[100:101], v[0:1], v[8:9]
	v_mul_f64 v[0:1], v[136:137], v[108:109]
	s_delay_alu instid0(VALU_DEP_1) | instskip(SKIP_1) | instid1(VALU_DEP_2)
	v_fma_f64 v[0:1], v[132:133], v[102:103], v[0:1]
	v_dual_mov_b32 v132, v2 :: v_dual_mov_b32 v133, v3
	v_fma_f64 v[0:1], v[134:135], v[110:111], v[0:1]
	s_delay_alu instid0(VALU_DEP_1)
	v_fma_f64 v[10:11], v[100:101], v[0:1], v[10:11]
	v_mul_f64 v[0:1], v[128:129], v[128:129]
	s_clause 0x1
	scratch_store_b128 off, v[4:7], off offset:640
	scratch_store_b128 off, v[8:11], off offset:656
	v_fma_f64 v[0:1], v[126:127], v[126:127], v[0:1]
	s_delay_alu instid0(VALU_DEP_1) | instskip(NEXT) | instid1(VALU_DEP_1)
	v_fma_f64 v[0:1], v[130:131], v[130:131], v[0:1]
	v_fma_f64 v[134:135], v[100:101], v[0:1], v[12:13]
	v_mul_f64 v[0:1], v[128:129], v[124:125]
	s_delay_alu instid0(VALU_DEP_1) | instskip(NEXT) | instid1(VALU_DEP_1)
	v_fma_f64 v[0:1], v[126:127], v[120:121], v[0:1]
	v_fma_f64 v[0:1], v[130:131], v[122:123], v[0:1]
	s_delay_alu instid0(VALU_DEP_1) | instskip(SKIP_2) | instid1(VALU_DEP_3)
	v_fma_f64 v[0:1], v[100:101], v[0:1], v[14:15]
	v_mov_b32_e32 v2, v4
	v_dual_mov_b32 v3, v5 :: v_dual_mov_b32 v4, v6
	v_dual_mov_b32 v5, v7 :: v_dual_mov_b32 v4, v0
	s_delay_alu instid0(VALU_DEP_4) | instskip(SKIP_2) | instid1(VALU_DEP_1)
	v_mov_b32_e32 v5, v1
	scratch_store_b128 off, v[2:5], off offset:816
	v_mul_f64 v[2:3], v[128:129], v[116:117]
	v_fma_f64 v[2:3], v[126:127], v[114:115], v[2:3]
	s_delay_alu instid0(VALU_DEP_1)
	v_fma_f64 v[12:13], v[130:131], v[118:119], v[2:3]
	scratch_load_b128 v[2:5], off, off offset:744
	s_waitcnt vmcnt(0)
	v_fma_f64 v[2:3], v[100:101], v[12:13], v[2:3]
	s_clause 0x1
	scratch_store_b128 off, v[132:135], off offset:720
	scratch_store_b128 off, v[0:3], off offset:736
	v_dual_mov_b32 v0, v6 :: v_dual_mov_b32 v1, v7
	scratch_store_b128 off, v[0:3], off offset:912
	v_mul_f64 v[0:1], v[128:129], v[112:113]
	s_delay_alu instid0(VALU_DEP_1) | instskip(NEXT) | instid1(VALU_DEP_1)
	v_fma_f64 v[0:1], v[126:127], v[104:105], v[0:1]
	v_fma_f64 v[0:1], v[130:131], v[106:107], v[0:1]
	s_delay_alu instid0(VALU_DEP_1) | instskip(SKIP_2) | instid1(VALU_DEP_3)
	v_fma_f64 v[0:1], v[100:101], v[0:1], v[4:5]
	v_dual_mov_b32 v2, v8 :: v_dual_mov_b32 v3, v9
	v_dual_mov_b32 v4, v10 :: v_dual_mov_b32 v5, v11
	;; [unrolled: 1-line block ×3, first 2 shown]
	scratch_store_b128 off, v[2:5], off offset:1008
	scratch_load_b64 v[4:5], off, off offset:760
	v_mul_f64 v[2:3], v[128:129], v[108:109]
	s_delay_alu instid0(VALU_DEP_1) | instskip(NEXT) | instid1(VALU_DEP_1)
	v_fma_f64 v[2:3], v[126:127], v[102:103], v[2:3]
	v_fma_f64 v[2:3], v[130:131], v[110:111], v[2:3]
	s_waitcnt vmcnt(0)
	s_delay_alu instid0(VALU_DEP_1)
	v_fma_f64 v[2:3], v[100:101], v[2:3], v[4:5]
	scratch_store_b128 off, v[0:3], off offset:752
	v_dual_mov_b32 v0, v10 :: v_dual_mov_b32 v1, v11
	scratch_load_b128 v[8:11], off, off offset:936
	scratch_store_b128 off, v[0:3], off offset:1104
	v_mul_f64 v[0:1], v[124:125], v[124:125]
	s_delay_alu instid0(VALU_DEP_1) | instskip(NEXT) | instid1(VALU_DEP_1)
	v_fma_f64 v[0:1], v[120:121], v[120:121], v[0:1]
	v_fma_f64 v[4:5], v[122:123], v[122:123], v[0:1]
	scratch_load_b128 v[0:3], off, off offset:832
	s_waitcnt vmcnt(0)
	v_fma_f64 v[0:1], v[100:101], v[4:5], v[0:1]
	v_mul_f64 v[4:5], v[124:125], v[116:117]
	s_delay_alu instid0(VALU_DEP_1) | instskip(NEXT) | instid1(VALU_DEP_1)
	v_fma_f64 v[4:5], v[120:121], v[114:115], v[4:5]
	v_fma_f64 v[4:5], v[122:123], v[118:119], v[4:5]
	s_delay_alu instid0(VALU_DEP_1) | instskip(SKIP_4) | instid1(VALU_DEP_2)
	v_fma_f64 v[2:3], v[100:101], v[4:5], v[2:3]
	scratch_load_b128 v[4:7], off, off offset:848
	scratch_store_b128 off, v[0:3], off offset:832
	v_mul_f64 v[0:1], v[124:125], v[112:113]
	v_dual_mov_b32 v12, v2 :: v_dual_mov_b32 v13, v3
	v_fma_f64 v[0:1], v[120:121], v[104:105], v[0:1]
	s_delay_alu instid0(VALU_DEP_1) | instskip(SKIP_1) | instid1(VALU_DEP_1)
	v_fma_f64 v[0:1], v[122:123], v[106:107], v[0:1]
	s_waitcnt vmcnt(0)
	v_fma_f64 v[4:5], v[100:101], v[0:1], v[4:5]
	v_mul_f64 v[0:1], v[124:125], v[108:109]
	s_delay_alu instid0(VALU_DEP_1) | instskip(NEXT) | instid1(VALU_DEP_1)
	v_fma_f64 v[0:1], v[120:121], v[102:103], v[0:1]
	v_fma_f64 v[0:1], v[122:123], v[110:111], v[0:1]
	s_delay_alu instid0(VALU_DEP_1) | instskip(SKIP_1) | instid1(VALU_DEP_1)
	v_fma_f64 v[6:7], v[100:101], v[0:1], v[6:7]
	v_mul_f64 v[0:1], v[116:117], v[116:117]
	v_fma_f64 v[0:1], v[114:115], v[114:115], v[0:1]
	s_delay_alu instid0(VALU_DEP_1) | instskip(NEXT) | instid1(VALU_DEP_1)
	v_fma_f64 v[0:1], v[118:119], v[118:119], v[0:1]
	v_fma_f64 v[14:15], v[100:101], v[0:1], v[8:9]
	v_mul_f64 v[0:1], v[116:117], v[112:113]
	s_clause 0x1
	scratch_store_b128 off, v[4:7], off offset:848
	scratch_store_b128 off, v[12:15], off offset:928
	v_fma_f64 v[0:1], v[114:115], v[104:105], v[0:1]
	s_delay_alu instid0(VALU_DEP_1) | instskip(NEXT) | instid1(VALU_DEP_1)
	v_fma_f64 v[0:1], v[118:119], v[106:107], v[0:1]
	v_fma_f64 v[0:1], v[100:101], v[0:1], v[10:11]
	v_mov_b32_e32 v2, v4
	v_dual_mov_b32 v3, v5 :: v_dual_mov_b32 v4, v6
	s_delay_alu instid0(VALU_DEP_3) | instskip(NEXT) | instid1(VALU_DEP_4)
	v_dual_mov_b32 v5, v7 :: v_dual_mov_b32 v4, v0
	v_mov_b32_e32 v5, v1
	scratch_store_b128 off, v[2:5], off offset:1024
	scratch_load_b64 v[4:5], off, off offset:952
	v_mul_f64 v[2:3], v[116:117], v[108:109]
	s_delay_alu instid0(VALU_DEP_1) | instskip(NEXT) | instid1(VALU_DEP_1)
	v_fma_f64 v[2:3], v[114:115], v[102:103], v[2:3]
	v_fma_f64 v[2:3], v[118:119], v[110:111], v[2:3]
	s_waitcnt vmcnt(0)
	s_delay_alu instid0(VALU_DEP_1) | instskip(SKIP_4) | instid1(VALU_DEP_1)
	v_fma_f64 v[2:3], v[100:101], v[2:3], v[4:5]
	scratch_store_b128 off, v[0:3], off offset:944
	v_dual_mov_b32 v0, v6 :: v_dual_mov_b32 v1, v7
	scratch_store_b128 off, v[0:3], off offset:1120
	v_mul_f64 v[0:1], v[112:113], v[112:113]
	v_fma_f64 v[0:1], v[104:105], v[104:105], v[0:1]
	s_delay_alu instid0(VALU_DEP_1) | instskip(SKIP_4) | instid1(VALU_DEP_1)
	v_fma_f64 v[4:5], v[106:107], v[106:107], v[0:1]
	scratch_load_b128 v[0:3], off, off offset:1040
	s_waitcnt vmcnt(0)
	v_fma_f64 v[0:1], v[100:101], v[4:5], v[0:1]
	v_mul_f64 v[4:5], v[112:113], v[108:109]
	v_fma_f64 v[4:5], v[104:105], v[102:103], v[4:5]
	s_delay_alu instid0(VALU_DEP_1) | instskip(NEXT) | instid1(VALU_DEP_1)
	v_fma_f64 v[4:5], v[106:107], v[110:111], v[4:5]
	v_fma_f64 v[2:3], v[100:101], v[4:5], v[2:3]
	scratch_load_b64 v[4:5], off, off offset:1144
	scratch_store_b128 off, v[0:3], off offset:1040
	v_mul_f64 v[0:1], v[108:109], v[108:109]
	s_delay_alu instid0(VALU_DEP_1) | instskip(NEXT) | instid1(VALU_DEP_1)
	v_fma_f64 v[0:1], v[102:103], v[102:103], v[0:1]
	v_fma_f64 v[0:1], v[110:111], v[110:111], v[0:1]
	s_waitcnt vmcnt(0)
	s_delay_alu instid0(VALU_DEP_1)
	v_fma_f64 v[4:5], v[100:101], v[0:1], v[4:5]
	scratch_store_b128 off, v[2:5], off offset:1136
	s_cbranch_vccz .LBB1_4
; %bb.5:                                ;   in Loop: Header=BB1_3 Depth=2
	s_mov_b32 s0, 0
	s_and_b32 vcc_lo, exec_lo, s16
	s_mov_b64 s[12:13], s[6:7]
	s_cbranch_vccz .LBB1_3
; %bb.6:                                ;   in Loop: Header=BB1_2 Depth=1
	s_and_not1_b32 vcc_lo, exec_lo, s1
	s_mov_b64 s[10:11], s[6:7]
	s_cbranch_vccnz .LBB1_2
; %bb.7:
	v_mov_b32_e32 v0, 0
	v_dual_mov_b32 v1, 0 :: v_dual_mov_b32 v2, 0
.LBB1_8:                                ; =>This Inner Loop Header: Depth=1
	s_add_i32 s1, s0, 0
	scratch_load_b128 v[3:6], off, s1
	v_readfirstlane_b32 s1, v2
	s_delay_alu instid0(VALU_DEP_1)
	s_add_i32 s1, s1, s0
	s_addk_i32 s0, 0xc0
	s_add_i32 s4, s1, 0x60
	scratch_load_b128 v[7:10], off, s4
	s_add_i32 s4, s1, 16
	scratch_load_b128 v[11:14], off, s4
	;; [unrolled: 2-line block ×9, first 2 shown]
	s_add_i32 s4, s1, 0x50
	s_addk_i32 s1, 0xb0
	s_cmpk_lg_i32 s0, 0x480
	s_waitcnt vmcnt(9)
	v_add_f64 v[3:4], v[3:4], 0
	s_waitcnt vmcnt(8)
	v_add_f64 v[7:8], v[7:8], 0
	s_delay_alu instid0(VALU_DEP_2)
	v_add_f64 v[43:44], v[3:4], v[5:6]
	scratch_load_b128 v[3:6], off, s4
	v_add_f64 v[45:46], v[7:8], v[9:10]
	scratch_load_b128 v[7:10], off, s1
	s_waitcnt vmcnt(9)
	v_add_f64 v[11:12], v[43:44], v[11:12]
	s_waitcnt vmcnt(8)
	v_add_f64 v[15:16], v[45:46], v[15:16]
	s_delay_alu instid0(VALU_DEP_2) | instskip(NEXT) | instid1(VALU_DEP_2)
	v_add_f64 v[11:12], v[11:12], v[13:14]
	v_add_f64 v[13:14], v[15:16], v[17:18]
	s_waitcnt vmcnt(7)
	s_delay_alu instid0(VALU_DEP_2) | instskip(SKIP_1) | instid1(VALU_DEP_2)
	v_add_f64 v[11:12], v[11:12], v[19:20]
	s_waitcnt vmcnt(6)
	v_add_f64 v[13:14], v[13:14], v[23:24]
	s_delay_alu instid0(VALU_DEP_2) | instskip(NEXT) | instid1(VALU_DEP_2)
	v_add_f64 v[11:12], v[11:12], v[21:22]
	v_add_f64 v[13:14], v[13:14], v[25:26]
	s_waitcnt vmcnt(5)
	s_delay_alu instid0(VALU_DEP_2) | instskip(SKIP_1) | instid1(VALU_DEP_2)
	;; [unrolled: 8-line block ×4, first 2 shown]
	v_add_f64 v[3:4], v[11:12], v[3:4]
	s_waitcnt vmcnt(0)
	v_add_f64 v[7:8], v[13:14], v[7:8]
	s_delay_alu instid0(VALU_DEP_2) | instskip(NEXT) | instid1(VALU_DEP_2)
	v_add_f64 v[3:4], v[3:4], v[5:6]
	v_add_f64 v[5:6], v[7:8], v[9:10]
	s_delay_alu instid0(VALU_DEP_2) | instskip(NEXT) | instid1(VALU_DEP_1)
	v_add_f64 v[0:1], v[0:1], v[3:4]
	v_add_f64 v[0:1], v[0:1], v[5:6]
	s_cbranch_scc1 .LBB1_8
; %bb.9:
	scratch_load_b64 v[2:3], off, off offset:1176 ; 8-byte Folded Reload
	s_waitcnt vmcnt(0)
	v_add_co_u32 v2, vcc_lo, s2, v2
	v_add_co_ci_u32_e32 v3, vcc_lo, s3, v3, vcc_lo
	global_store_b64 v[2:3], v[0:1], off
.LBB1_10:
	s_endpgm
	.section	.rodata,"a",@progbits
	.p2align	6, 0x0
	.amdhsa_kernel _ZN8rajaperf17lambda_hip_forallILm256EZNS_4apps6EDGE3D17runHipVariantImplILm256EEEvNS_9VariantIDEEUllE_EEvllT0_
		.amdhsa_group_segment_fixed_size 0
		.amdhsa_private_segment_fixed_size 1200
		.amdhsa_kernarg_size 216
		.amdhsa_user_sgpr_count 15
		.amdhsa_user_sgpr_dispatch_ptr 0
		.amdhsa_user_sgpr_queue_ptr 0
		.amdhsa_user_sgpr_kernarg_segment_ptr 1
		.amdhsa_user_sgpr_dispatch_id 0
		.amdhsa_user_sgpr_private_segment_size 0
		.amdhsa_wavefront_size32 1
		.amdhsa_uses_dynamic_stack 0
		.amdhsa_enable_private_segment 1
		.amdhsa_system_sgpr_workgroup_id_x 1
		.amdhsa_system_sgpr_workgroup_id_y 0
		.amdhsa_system_sgpr_workgroup_id_z 0
		.amdhsa_system_sgpr_workgroup_info 0
		.amdhsa_system_vgpr_workitem_id 0
		.amdhsa_next_free_vgpr 256
		.amdhsa_next_free_sgpr 60
		.amdhsa_reserve_vcc 1
		.amdhsa_float_round_mode_32 0
		.amdhsa_float_round_mode_16_64 0
		.amdhsa_float_denorm_mode_32 3
		.amdhsa_float_denorm_mode_16_64 3
		.amdhsa_dx10_clamp 1
		.amdhsa_ieee_mode 1
		.amdhsa_fp16_overflow 0
		.amdhsa_workgroup_processor_mode 1
		.amdhsa_memory_ordered 1
		.amdhsa_forward_progress 0
		.amdhsa_shared_vgpr_count 0
		.amdhsa_exception_fp_ieee_invalid_op 0
		.amdhsa_exception_fp_denorm_src 0
		.amdhsa_exception_fp_ieee_div_zero 0
		.amdhsa_exception_fp_ieee_overflow 0
		.amdhsa_exception_fp_ieee_underflow 0
		.amdhsa_exception_fp_ieee_inexact 0
		.amdhsa_exception_int_div_zero 0
	.end_amdhsa_kernel
	.section	.text._ZN8rajaperf17lambda_hip_forallILm256EZNS_4apps6EDGE3D17runHipVariantImplILm256EEEvNS_9VariantIDEEUllE_EEvllT0_,"axG",@progbits,_ZN8rajaperf17lambda_hip_forallILm256EZNS_4apps6EDGE3D17runHipVariantImplILm256EEEvNS_9VariantIDEEUllE_EEvllT0_,comdat
.Lfunc_end1:
	.size	_ZN8rajaperf17lambda_hip_forallILm256EZNS_4apps6EDGE3D17runHipVariantImplILm256EEEvNS_9VariantIDEEUllE_EEvllT0_, .Lfunc_end1-_ZN8rajaperf17lambda_hip_forallILm256EZNS_4apps6EDGE3D17runHipVariantImplILm256EEEvNS_9VariantIDEEUllE_EEvllT0_
                                        ; -- End function
	.section	.AMDGPU.csdata,"",@progbits
; Kernel info:
; codeLenInByte = 13700
; NumSgprs: 62
; NumVgprs: 256
; ScratchSize: 1200
; MemoryBound: 0
; FloatMode: 240
; IeeeMode: 1
; LDSByteSize: 0 bytes/workgroup (compile time only)
; SGPRBlocks: 7
; VGPRBlocks: 31
; NumSGPRsForWavesPerEU: 62
; NumVGPRsForWavesPerEU: 256
; Occupancy: 5
; WaveLimiterHint : 1
; COMPUTE_PGM_RSRC2:SCRATCH_EN: 1
; COMPUTE_PGM_RSRC2:USER_SGPR: 15
; COMPUTE_PGM_RSRC2:TRAP_HANDLER: 0
; COMPUTE_PGM_RSRC2:TGID_X_EN: 1
; COMPUTE_PGM_RSRC2:TGID_Y_EN: 0
; COMPUTE_PGM_RSRC2:TGID_Z_EN: 0
; COMPUTE_PGM_RSRC2:TIDIG_COMP_CNT: 0
	.section	.text._ZN4RAJA6policy3hip4impl18forallp_hip_kernelINS1_8hip_execINS_17iteration_mapping6DirectENS_3hip11IndexGlobalILNS_9named_dimE0ELi256ELi0EEENS7_40AvoidDeviceMaxThreadOccupancyConcretizerINS7_34FractionOffsetOccupancyConcretizerINS_8FractionImLm1ELm1EEELln1EEEEELb1EEENS_9Iterators16numeric_iteratorIllPlEEZN8rajaperf4apps6EDGE3D17runHipVariantImplILm256EEEvNSM_9VariantIDEEUllE0_lNS_4expt15ForallParamPackIJEEES6_SA_TnNSt9enable_ifIXaasr3std10is_base_ofINS5_10DirectBaseET4_EE5valuegtsrT5_10block_sizeLi0EEmE4typeELm256EEEvT1_T0_T2_T3_,"axG",@progbits,_ZN4RAJA6policy3hip4impl18forallp_hip_kernelINS1_8hip_execINS_17iteration_mapping6DirectENS_3hip11IndexGlobalILNS_9named_dimE0ELi256ELi0EEENS7_40AvoidDeviceMaxThreadOccupancyConcretizerINS7_34FractionOffsetOccupancyConcretizerINS_8FractionImLm1ELm1EEELln1EEEEELb1EEENS_9Iterators16numeric_iteratorIllPlEEZN8rajaperf4apps6EDGE3D17runHipVariantImplILm256EEEvNSM_9VariantIDEEUllE0_lNS_4expt15ForallParamPackIJEEES6_SA_TnNSt9enable_ifIXaasr3std10is_base_ofINS5_10DirectBaseET4_EE5valuegtsrT5_10block_sizeLi0EEmE4typeELm256EEEvT1_T0_T2_T3_,comdat
	.protected	_ZN4RAJA6policy3hip4impl18forallp_hip_kernelINS1_8hip_execINS_17iteration_mapping6DirectENS_3hip11IndexGlobalILNS_9named_dimE0ELi256ELi0EEENS7_40AvoidDeviceMaxThreadOccupancyConcretizerINS7_34FractionOffsetOccupancyConcretizerINS_8FractionImLm1ELm1EEELln1EEEEELb1EEENS_9Iterators16numeric_iteratorIllPlEEZN8rajaperf4apps6EDGE3D17runHipVariantImplILm256EEEvNSM_9VariantIDEEUllE0_lNS_4expt15ForallParamPackIJEEES6_SA_TnNSt9enable_ifIXaasr3std10is_base_ofINS5_10DirectBaseET4_EE5valuegtsrT5_10block_sizeLi0EEmE4typeELm256EEEvT1_T0_T2_T3_ ; -- Begin function _ZN4RAJA6policy3hip4impl18forallp_hip_kernelINS1_8hip_execINS_17iteration_mapping6DirectENS_3hip11IndexGlobalILNS_9named_dimE0ELi256ELi0EEENS7_40AvoidDeviceMaxThreadOccupancyConcretizerINS7_34FractionOffsetOccupancyConcretizerINS_8FractionImLm1ELm1EEELln1EEEEELb1EEENS_9Iterators16numeric_iteratorIllPlEEZN8rajaperf4apps6EDGE3D17runHipVariantImplILm256EEEvNSM_9VariantIDEEUllE0_lNS_4expt15ForallParamPackIJEEES6_SA_TnNSt9enable_ifIXaasr3std10is_base_ofINS5_10DirectBaseET4_EE5valuegtsrT5_10block_sizeLi0EEmE4typeELm256EEEvT1_T0_T2_T3_
	.globl	_ZN4RAJA6policy3hip4impl18forallp_hip_kernelINS1_8hip_execINS_17iteration_mapping6DirectENS_3hip11IndexGlobalILNS_9named_dimE0ELi256ELi0EEENS7_40AvoidDeviceMaxThreadOccupancyConcretizerINS7_34FractionOffsetOccupancyConcretizerINS_8FractionImLm1ELm1EEELln1EEEEELb1EEENS_9Iterators16numeric_iteratorIllPlEEZN8rajaperf4apps6EDGE3D17runHipVariantImplILm256EEEvNSM_9VariantIDEEUllE0_lNS_4expt15ForallParamPackIJEEES6_SA_TnNSt9enable_ifIXaasr3std10is_base_ofINS5_10DirectBaseET4_EE5valuegtsrT5_10block_sizeLi0EEmE4typeELm256EEEvT1_T0_T2_T3_
	.p2align	8
	.type	_ZN4RAJA6policy3hip4impl18forallp_hip_kernelINS1_8hip_execINS_17iteration_mapping6DirectENS_3hip11IndexGlobalILNS_9named_dimE0ELi256ELi0EEENS7_40AvoidDeviceMaxThreadOccupancyConcretizerINS7_34FractionOffsetOccupancyConcretizerINS_8FractionImLm1ELm1EEELln1EEEEELb1EEENS_9Iterators16numeric_iteratorIllPlEEZN8rajaperf4apps6EDGE3D17runHipVariantImplILm256EEEvNSM_9VariantIDEEUllE0_lNS_4expt15ForallParamPackIJEEES6_SA_TnNSt9enable_ifIXaasr3std10is_base_ofINS5_10DirectBaseET4_EE5valuegtsrT5_10block_sizeLi0EEmE4typeELm256EEEvT1_T0_T2_T3_,@function
_ZN4RAJA6policy3hip4impl18forallp_hip_kernelINS1_8hip_execINS_17iteration_mapping6DirectENS_3hip11IndexGlobalILNS_9named_dimE0ELi256ELi0EEENS7_40AvoidDeviceMaxThreadOccupancyConcretizerINS7_34FractionOffsetOccupancyConcretizerINS_8FractionImLm1ELm1EEELln1EEEEELb1EEENS_9Iterators16numeric_iteratorIllPlEEZN8rajaperf4apps6EDGE3D17runHipVariantImplILm256EEEvNSM_9VariantIDEEUllE0_lNS_4expt15ForallParamPackIJEEES6_SA_TnNSt9enable_ifIXaasr3std10is_base_ofINS5_10DirectBaseET4_EE5valuegtsrT5_10block_sizeLi0EEmE4typeELm256EEEvT1_T0_T2_T3_: ; @_ZN4RAJA6policy3hip4impl18forallp_hip_kernelINS1_8hip_execINS_17iteration_mapping6DirectENS_3hip11IndexGlobalILNS_9named_dimE0ELi256ELi0EEENS7_40AvoidDeviceMaxThreadOccupancyConcretizerINS7_34FractionOffsetOccupancyConcretizerINS_8FractionImLm1ELm1EEELln1EEEEELb1EEENS_9Iterators16numeric_iteratorIllPlEEZN8rajaperf4apps6EDGE3D17runHipVariantImplILm256EEEvNSM_9VariantIDEEUllE0_lNS_4expt15ForallParamPackIJEEES6_SA_TnNSt9enable_ifIXaasr3std10is_base_ofINS5_10DirectBaseET4_EE5valuegtsrT5_10block_sizeLi0EEmE4typeELm256EEEvT1_T0_T2_T3_
; %bb.0:
	s_load_b64 s[2:3], s[0:1], 0xd0
	s_mov_b32 s24, s15
	s_mov_b32 s25, 0
	s_delay_alu instid0(SALU_CYCLE_1) | instskip(NEXT) | instid1(SALU_CYCLE_1)
	s_lshl_b64 s[4:5], s[24:25], 8
	v_or_b32_e32 v0, s4, v0
	v_mov_b32_e32 v1, s5
	s_waitcnt lgkmcnt(0)
	s_delay_alu instid0(VALU_DEP_1)
	v_cmp_gt_i64_e32 vcc_lo, s[2:3], v[0:1]
	s_and_saveexec_b32 s2, vcc_lo
	s_cbranch_execz .LBB2_10
; %bb.1:
	s_clause 0x3
	s_load_b128 s[20:23], s[0:1], 0xc0
	s_load_b512 s[52:67], s[0:1], 0x0
	s_load_b512 s[4:19], s[0:1], 0x80
	;; [unrolled: 1-line block ×3, first 2 shown]
	s_mov_b32 s24, s25
	s_mov_b32 s26, s25
	;; [unrolled: 1-line block ×3, first 2 shown]
	v_dual_mov_b32 v95, s25 :: v_dual_mov_b32 v94, s24
	s_mov_b32 s2, 0x4ad4b81f
	s_mov_b32 s3, 0x358dee7a
	s_mov_b32 s0, -1
	s_waitcnt lgkmcnt(0)
	v_add_co_u32 v0, vcc_lo, v0, s22
	v_add_co_ci_u32_e32 v1, vcc_lo, s23, v1, vcc_lo
	s_delay_alu instid0(VALU_DEP_1) | instskip(NEXT) | instid1(VALU_DEP_1)
	v_lshlrev_b64 v[22:23], 3, v[0:1]
	v_add_co_u32 v0, vcc_lo, s52, v22
	s_delay_alu instid0(VALU_DEP_2)
	v_add_co_ci_u32_e32 v1, vcc_lo, s53, v23, vcc_lo
	v_add_co_u32 v2, vcc_lo, s54, v22
	v_add_co_ci_u32_e32 v3, vcc_lo, s55, v23, vcc_lo
	v_add_co_u32 v4, vcc_lo, s56, v22
	;; [unrolled: 2-line block ×5, first 2 shown]
	v_add_co_ci_u32_e32 v11, vcc_lo, s63, v23, vcc_lo
	global_load_b64 v[12:13], v[0:1], off
	global_load_b64 v[14:15], v[2:3], off
	;; [unrolled: 1-line block ×4, first 2 shown]
	v_add_co_u32 v0, vcc_lo, s64, v22
	v_add_co_ci_u32_e32 v1, vcc_lo, s65, v23, vcc_lo
	v_add_co_u32 v2, vcc_lo, s66, v22
	v_add_co_ci_u32_e32 v3, vcc_lo, s67, v23, vcc_lo
	v_add_co_u32 v16, vcc_lo, s36, v22
	v_add_co_ci_u32_e32 v17, vcc_lo, s37, v23, vcc_lo
	global_load_b64 v[8:9], v[8:9], off
	global_load_b64 v[10:11], v[10:11], off
	global_load_b64 v[58:59], v[0:1], off
	global_load_b64 v[54:55], v[2:3], off
	global_load_b64 v[62:63], v[16:17], off
	v_add_co_u32 v0, vcc_lo, s38, v22
	v_add_co_ci_u32_e32 v1, vcc_lo, s39, v23, vcc_lo
	v_add_co_u32 v2, vcc_lo, s40, v22
	v_add_co_ci_u32_e32 v3, vcc_lo, s41, v23, vcc_lo
	v_add_co_u32 v16, vcc_lo, s42, v22
	v_add_co_ci_u32_e32 v17, vcc_lo, s43, v23, vcc_lo
	v_add_co_u32 v18, vcc_lo, s44, v22
	v_add_co_ci_u32_e32 v19, vcc_lo, s45, v23, vcc_lo
	v_add_co_u32 v20, vcc_lo, s46, v22
	v_add_co_ci_u32_e32 v21, vcc_lo, s47, v23, vcc_lo
	global_load_b64 v[66:67], v[0:1], off
	global_load_b64 v[68:69], v[2:3], off
	global_load_b64 v[64:65], v[16:17], off
	global_load_b64 v[70:71], v[18:19], off
	global_load_b64 v[72:73], v[20:21], off
	v_add_co_u32 v0, vcc_lo, s48, v22
	v_add_co_ci_u32_e32 v1, vcc_lo, s49, v23, vcc_lo
	v_add_co_u32 v2, vcc_lo, s50, v22
	v_add_co_ci_u32_e32 v3, vcc_lo, s51, v23, vcc_lo
	;; [unrolled: 15-line block ×3, first 2 shown]
	v_add_co_u32 v16, vcc_lo, s14, v22
	v_add_co_ci_u32_e32 v17, vcc_lo, s15, v23, vcc_lo
	v_add_co_u32 v18, vcc_lo, s16, v22
	v_add_co_ci_u32_e32 v19, vcc_lo, s17, v23, vcc_lo
	v_add_co_u32 v20, vcc_lo, s18, v22
	scratch_store_b64 off, v[22:23], off offset:1176 ; 8-byte Folded Spill
	v_add_co_ci_u32_e32 v21, vcc_lo, s19, v23, vcc_lo
	global_load_b64 v[84:85], v[0:1], off
	global_load_b64 v[86:87], v[2:3], off
	;; [unrolled: 1-line block ×5, first 2 shown]
	v_dual_mov_b32 v0, s24 :: v_dual_mov_b32 v1, s25
	v_dual_mov_b32 v2, s26 :: v_dual_mov_b32 v3, s27
	s_clause 0xb
	scratch_store_b128 off, v[0:3], off
	scratch_store_b128 off, v[0:3], off offset:16
	scratch_store_b128 off, v[0:3], off offset:32
	;; [unrolled: 1-line block ×10, first 2 shown]
	scratch_store_b64 off, v[94:95], off offset:184
	s_mov_b32 s6, 0x74df99c7
	s_mov_b32 s7, 0x3fcb0cb1
	;; [unrolled: 1-line block ×4, first 2 shown]
	s_mov_b64 s[8:9], s[6:7]
	s_waitcnt vmcnt(22)
	v_add_f64 v[34:35], v[14:15], -v[12:13]
	s_waitcnt vmcnt(21)
	v_add_f64 v[50:51], v[4:5], -v[14:15]
	;; [unrolled: 2-line block ×3, first 2 shown]
	v_add_f64 v[46:47], v[6:7], -v[12:13]
	s_waitcnt vmcnt(19)
	v_add_f64 v[16:17], v[8:9], -v[12:13]
	s_waitcnt vmcnt(18)
	;; [unrolled: 2-line block ×7, first 2 shown]
	v_add_f64 v[20:21], v[72:73], -v[66:67]
	v_add_f64 v[48:49], v[72:73], -v[70:71]
	;; [unrolled: 1-line block ×4, first 2 shown]
	scratch_store_b64 off, v[16:17], off offset:1152 ; 8-byte Folded Spill
	v_add_f64 v[16:17], v[10:11], -v[14:15]
	s_waitcnt vmcnt(9)
	v_add_f64 v[22:23], v[74:75], -v[68:69]
	s_waitcnt vmcnt(8)
	v_add_f64 v[24:25], v[76:77], -v[64:65]
	v_add_f64 v[52:53], v[74:75], -v[76:77]
	s_waitcnt vmcnt(6)
	v_add_f64 v[56:57], v[80:81], -v[78:79]
	v_add_f64 v[70:71], v[76:77], -v[70:71]
	;; [unrolled: 1-line block ×3, first 2 shown]
	s_waitcnt vmcnt(5)
	v_add_f64 v[76:77], v[82:83], -v[80:81]
	s_waitcnt vmcnt(4)
	v_add_f64 v[60:61], v[82:83], -v[84:85]
	;; [unrolled: 2-line block ×6, first 2 shown]
	v_add_f64 v[64:65], v[88:89], -v[86:87]
	v_add_f64 v[68:69], v[90:91], -v[92:93]
	;; [unrolled: 1-line block ×5, first 2 shown]
	scratch_store_b64 off, v[16:17], off offset:1160 ; 8-byte Folded Spill
	v_add_f64 v[16:17], v[58:59], -v[4:5]
	v_add_f64 v[58:59], v[58:59], -v[10:11]
	scratch_store_b64 off, v[16:17], off offset:1168 ; 8-byte Folded Spill
	v_add_f64 v[16:17], v[54:55], -v[6:7]
	v_add_f64 v[54:55], v[54:55], -v[8:9]
	s_clause 0x1d
	scratch_store_b128 off, v[0:3], off offset:208
	scratch_store_b128 off, v[0:3], off offset:224
	;; [unrolled: 1-line block ×9, first 2 shown]
	scratch_store_b64 off, v[94:95], off offset:376
	scratch_store_b128 off, v[0:3], off offset:416
	scratch_store_b128 off, v[0:3], off offset:432
	;; [unrolled: 1-line block ×7, first 2 shown]
	scratch_store_b64 off, v[94:95], off offset:568
	scratch_store_b128 off, v[0:3], off offset:624
	scratch_store_b128 off, v[0:3], off offset:640
	;; [unrolled: 1-line block ×5, first 2 shown]
	scratch_store_b64 off, v[94:95], off offset:760
	scratch_store_b128 off, v[0:3], off offset:832
	scratch_store_b128 off, v[0:3], off offset:848
	;; [unrolled: 1-line block ×3, first 2 shown]
	scratch_store_b64 off, v[94:95], off offset:952
	scratch_store_b128 off, v[0:3], off offset:1040
	scratch_store_b64 off, v[94:95], off offset:1144
.LBB2_2:                                ; =>This Loop Header: Depth=1
                                        ;     Child Loop BB2_3 Depth 2
                                        ;       Child Loop BB2_4 Depth 3
	v_add_f64 v[82:83], -s[8:9], 1.0
	s_xor_b32 s1, s0, -1
	s_mov_b32 s0, -1
	s_mov_b64 s[10:11], s[6:7]
.LBB2_3:                                ;   Parent Loop BB2_2 Depth=1
                                        ; =>  This Loop Header: Depth=2
                                        ;       Child Loop BB2_4 Depth 3
	s_clause 0x1
	scratch_load_b64 v[0:1], off, off offset:1160
	scratch_load_b64 v[6:7], off, off offset:1152
	v_add_f64 v[84:85], -s[10:11], 1.0
	v_mul_f64 v[90:91], s[8:9], s[10:11]
	v_mul_f64 v[92:93], v[82:83], s[10:11]
	s_mov_b32 s15, -1
	s_xor_b32 s14, s0, -1
	s_mov_b64 s[12:13], s[6:7]
	s_delay_alu instid0(VALU_DEP_3) | instskip(SKIP_1) | instid1(VALU_DEP_2)
	v_mul_f64 v[86:87], s[8:9], v[84:85]
	v_mul_f64 v[88:89], v[82:83], v[84:85]
	;; [unrolled: 1-line block ×4, first 2 shown]
	s_delay_alu instid0(VALU_DEP_2) | instskip(NEXT) | instid1(VALU_DEP_2)
	v_fma_f64 v[2:3], v[18:19], v[88:89], v[2:3]
	v_fma_f64 v[4:5], v[26:27], v[88:89], v[4:5]
	s_delay_alu instid0(VALU_DEP_2) | instskip(NEXT) | instid1(VALU_DEP_2)
	v_fma_f64 v[2:3], v[22:23], v[90:91], v[2:3]
	v_fma_f64 v[4:5], v[30:31], v[90:91], v[4:5]
	;; [unrolled: 3-line block ×3, first 2 shown]
	s_waitcnt vmcnt(1)
	v_mul_f64 v[0:1], v[0:1], v[86:87]
	s_waitcnt vmcnt(0)
	s_delay_alu instid0(VALU_DEP_1) | instskip(SKIP_3) | instid1(VALU_DEP_1)
	v_fma_f64 v[0:1], v[6:7], v[88:89], v[0:1]
	scratch_load_b64 v[6:7], off, off offset:1168 ; 8-byte Folded Reload
	s_waitcnt vmcnt(0)
	v_fma_f64 v[0:1], v[6:7], v[90:91], v[0:1]
	v_fma_f64 v[94:95], v[16:17], v[92:93], v[0:1]
.LBB2_4:                                ;   Parent Loop BB2_2 Depth=1
                                        ;     Parent Loop BB2_3 Depth=2
                                        ; =>    This Inner Loop Header: Depth=3
	v_add_f64 v[8:9], -s[12:13], 1.0
	v_cndmask_b32_e64 v0, 0, 1, s15
	v_mul_f64 v[10:11], v[84:85], s[12:13]
	v_mul_f64 v[12:13], v[82:83], s[12:13]
	v_mul_f64 v[4:5], s[8:9], s[12:13]
	v_mul_f64 v[6:7], s[10:11], s[12:13]
	v_cmp_ne_u32_e64 s0, 1, v0
	s_mov_b32 s15, 0
	v_mul_f64 v[0:1], v[82:83], v[8:9]
	v_mul_f64 v[14:15], s[10:11], v[8:9]
	;; [unrolled: 1-line block ×4, first 2 shown]
	s_delay_alu instid0(VALU_DEP_4) | instskip(NEXT) | instid1(VALU_DEP_4)
	v_mul_f64 v[110:111], v[62:63], v[0:1]
	v_mul_f64 v[106:107], v[60:61], v[14:15]
	;; [unrolled: 1-line block ×6, first 2 shown]
	v_fma_f64 v[110:111], v[66:67], v[100:101], v[110:111]
	v_fma_f64 v[106:107], v[56:57], v[2:3], v[106:107]
	;; [unrolled: 1-line block ×18, first 2 shown]
	v_mul_f64 v[130:131], v[94:95], v[110:111]
	v_mul_f64 v[116:117], v[110:111], v[106:107]
	;; [unrolled: 1-line block ×6, first 2 shown]
	v_fma_f64 v[130:131], v[96:97], v[108:109], -v[130:131]
	v_mul_f64 v[118:119], v[94:95], v[116:117]
	v_fma_f64 v[116:117], v[104:105], v[112:113], -v[116:117]
	s_delay_alu instid0(VALU_DEP_4) | instskip(NEXT) | instid1(VALU_DEP_3)
	v_fma_f64 v[132:133], v[94:95], v[104:105], -v[132:133]
	v_fma_f64 v[114:115], v[94:95], v[114:115], -v[118:119]
	v_mul_f64 v[118:119], v[108:109], v[106:107]
	s_delay_alu instid0(VALU_DEP_1) | instskip(SKIP_1) | instid1(VALU_DEP_1)
	v_fma_f64 v[114:115], v[96:97], v[118:119], v[114:115]
	v_mul_f64 v[118:119], v[102:103], v[112:113]
	v_fma_f64 v[114:115], -v[96:97], v[118:119], v[114:115]
	v_fma_f64 v[118:119], v[108:109], v[106:107], -v[118:119]
	s_delay_alu instid0(VALU_DEP_2) | instskip(SKIP_1) | instid1(VALU_DEP_2)
	v_fma_f64 v[114:115], -v[98:99], v[120:121], v[114:115]
	v_fma_f64 v[120:121], v[102:103], v[110:111], -v[120:121]
	v_fma_f64 v[238:239], v[98:99], v[122:123], v[114:115]
	s_delay_alu instid0(VALU_DEP_1) | instskip(NEXT) | instid1(VALU_DEP_1)
	v_add_f64 v[114:115], v[238:239], s[2:3]
	v_div_scale_f64 v[122:123], null, v[114:115], v[114:115], 1.0
	s_delay_alu instid0(VALU_DEP_1) | instskip(SKIP_2) | instid1(VALU_DEP_1)
	v_rcp_f64_e32 v[124:125], v[122:123]
	s_waitcnt_depctr 0xfff
	v_fma_f64 v[126:127], -v[122:123], v[124:125], 1.0
	v_fma_f64 v[124:125], v[124:125], v[126:127], v[124:125]
	s_delay_alu instid0(VALU_DEP_1) | instskip(NEXT) | instid1(VALU_DEP_1)
	v_fma_f64 v[126:127], -v[122:123], v[124:125], 1.0
	v_fma_f64 v[124:125], v[124:125], v[126:127], v[124:125]
	v_div_scale_f64 v[126:127], vcc_lo, 1.0, v[114:115], 1.0
	s_delay_alu instid0(VALU_DEP_1) | instskip(NEXT) | instid1(VALU_DEP_1)
	v_mul_f64 v[128:129], v[126:127], v[124:125]
	v_fma_f64 v[122:123], -v[122:123], v[128:129], v[126:127]
	v_mul_f64 v[126:127], v[98:99], v[108:109]
	s_delay_alu instid0(VALU_DEP_2) | instskip(SKIP_2) | instid1(VALU_DEP_4)
	v_div_fmas_f64 v[122:123], v[122:123], v[124:125], v[128:129]
	v_mul_f64 v[124:125], v[98:99], v[104:105]
	v_mul_f64 v[128:129], v[94:95], v[106:107]
	v_fma_f64 v[126:127], v[94:95], v[112:113], -v[126:127]
	s_delay_alu instid0(VALU_DEP_4) | instskip(SKIP_3) | instid1(VALU_DEP_4)
	v_div_fixup_f64 v[114:115], v[122:123], v[114:115], 1.0
	v_mul_f64 v[122:123], v[96:97], v[112:113]
	v_fma_f64 v[124:125], v[96:97], v[106:107], -v[124:125]
	v_fma_f64 v[128:129], v[98:99], v[102:103], -v[128:129]
	v_mul_f64 v[116:117], v[116:117], v[114:115]
	s_delay_alu instid0(VALU_DEP_4) | instskip(NEXT) | instid1(VALU_DEP_4)
	v_fma_f64 v[122:123], v[98:99], v[110:111], -v[122:123]
	v_mul_f64 v[124:125], v[124:125], v[114:115]
	s_delay_alu instid0(VALU_DEP_4)
	v_mul_f64 v[128:129], v[128:129], v[114:115]
	v_mul_f64 v[126:127], v[126:127], v[114:115]
	;; [unrolled: 1-line block ×8, first 2 shown]
	v_add_f64 v[120:121], |v[238:239]|, s[2:3]
	s_delay_alu instid0(VALU_DEP_3) | instskip(NEXT) | instid1(VALU_DEP_1)
	v_fma_f64 v[136:137], v[2:3], v[122:123], v[134:135]
	v_fma_f64 v[232:233], v[116:117], 0, v[136:137]
	v_mul_f64 v[136:137], v[128:129], 0
	s_delay_alu instid0(VALU_DEP_1) | instskip(NEXT) | instid1(VALU_DEP_1)
	v_fma_f64 v[138:139], v[2:3], v[126:127], v[136:137]
	v_fma_f64 v[234:235], v[118:119], 0, v[138:139]
	v_mul_f64 v[138:139], v[132:133], 0
	s_delay_alu instid0(VALU_DEP_1) | instskip(NEXT) | instid1(VALU_DEP_1)
	v_fma_f64 v[2:3], v[2:3], v[130:131], v[138:139]
	v_fma_f64 v[236:237], v[114:115], 0, v[2:3]
	v_fma_f64 v[2:3], v[14:15], v[122:123], v[134:135]
	s_delay_alu instid0(VALU_DEP_1) | instskip(SKIP_1) | instid1(VALU_DEP_1)
	v_fma_f64 v[226:227], v[116:117], 0, v[2:3]
	v_fma_f64 v[2:3], v[14:15], v[126:127], v[136:137]
	v_fma_f64 v[228:229], v[118:119], 0, v[2:3]
	v_fma_f64 v[2:3], v[14:15], v[130:131], v[138:139]
	s_delay_alu instid0(VALU_DEP_1) | instskip(SKIP_1) | instid1(VALU_DEP_1)
	v_fma_f64 v[230:231], v[114:115], 0, v[2:3]
	;; [unrolled: 5-line block ×5, first 2 shown]
	v_mul_f64 v[2:3], v[122:123], 0
	v_fma_f64 v[6:7], v[0:1], v[124:125], v[2:3]
	s_delay_alu instid0(VALU_DEP_1) | instskip(SKIP_1) | instid1(VALU_DEP_1)
	v_fma_f64 v[208:209], v[116:117], 0, v[6:7]
	v_mul_f64 v[6:7], v[126:127], 0
	v_fma_f64 v[10:11], v[0:1], v[128:129], v[6:7]
	s_delay_alu instid0(VALU_DEP_1) | instskip(SKIP_1) | instid1(VALU_DEP_1)
	v_fma_f64 v[212:213], v[118:119], 0, v[10:11]
	;; [unrolled: 4-line block ×3, first 2 shown]
	v_fma_f64 v[0:1], v[100:101], v[124:125], v[2:3]
	v_fma_f64 v[202:203], v[116:117], 0, v[0:1]
	;; [unrolled: 1-line block ×3, first 2 shown]
	s_delay_alu instid0(VALU_DEP_1) | instskip(SKIP_1) | instid1(VALU_DEP_1)
	v_fma_f64 v[204:205], v[118:119], 0, v[0:1]
	v_fma_f64 v[0:1], v[100:101], v[132:133], v[10:11]
	;; [unrolled: 1-line block ×4, first 2 shown]
	s_delay_alu instid0(VALU_DEP_1) | instskip(SKIP_1) | instid1(VALU_DEP_1)
	v_fma_f64 v[196:197], v[116:117], 0, v[0:1]
	v_fma_f64 v[0:1], v[12:13], v[128:129], v[6:7]
	;; [unrolled: 1-line block ×4, first 2 shown]
	s_delay_alu instid0(VALU_DEP_1) | instskip(SKIP_2) | instid1(VALU_DEP_2)
	v_fma_f64 v[198:199], v[114:115], 0, v[0:1]
	v_fma_f64 v[0:1], v[4:5], v[124:125], v[2:3]
	;; [unrolled: 1-line block ×5, first 2 shown]
	s_delay_alu instid0(VALU_DEP_3) | instskip(SKIP_2) | instid1(VALU_DEP_4)
	v_fma_f64 v[188:189], v[88:89], v[118:119], v[2:3]
	v_fma_f64 v[182:183], v[86:87], v[118:119], v[2:3]
	;; [unrolled: 1-line block ×7, first 2 shown]
	s_delay_alu instid0(VALU_DEP_3) | instskip(NEXT) | instid1(VALU_DEP_3)
	v_fma_f64 v[194:195], v[114:115], 0, v[0:1]
	v_fma_f64 v[186:187], v[88:89], v[114:115], v[10:11]
	v_fma_f64 v[180:181], v[86:87], v[114:115], v[10:11]
	v_fma_f64 v[6:7], v[92:93], v[114:115], v[10:11]
	v_fma_f64 v[2:3], v[90:91], v[114:115], v[10:11]
	v_div_scale_f64 v[10:11], null, v[120:121], v[120:121], 1.0
	v_fma_f64 v[0:1], v[122:123], 0, v[134:135]
	s_delay_alu instid0(VALU_DEP_2) | instskip(NEXT) | instid1(VALU_DEP_1)
	v_rcp_f64_e32 v[12:13], v[10:11]
	v_fma_f64 v[184:185], v[88:89], v[116:117], v[0:1]
	v_fma_f64 v[178:179], v[86:87], v[116:117], v[0:1]
	;; [unrolled: 1-line block ×4, first 2 shown]
	s_waitcnt_depctr 0xfff
	v_fma_f64 v[14:15], -v[10:11], v[12:13], 1.0
	s_delay_alu instid0(VALU_DEP_1) | instskip(NEXT) | instid1(VALU_DEP_1)
	v_fma_f64 v[12:13], v[12:13], v[14:15], v[12:13]
	v_fma_f64 v[14:15], -v[10:11], v[12:13], 1.0
	s_delay_alu instid0(VALU_DEP_1) | instskip(SKIP_1) | instid1(VALU_DEP_1)
	v_fma_f64 v[12:13], v[12:13], v[14:15], v[12:13]
	v_div_scale_f64 v[14:15], vcc_lo, 1.0, v[120:121], 1.0
	v_mul_f64 v[100:101], v[14:15], v[12:13]
	s_delay_alu instid0(VALU_DEP_1) | instskip(NEXT) | instid1(VALU_DEP_1)
	v_fma_f64 v[10:11], -v[10:11], v[100:101], v[14:15]
	v_div_fmas_f64 v[10:11], v[10:11], v[12:13], v[100:101]
	s_and_b32 vcc_lo, exec_lo, s0
	s_delay_alu instid0(VALU_DEP_1) | instskip(NEXT) | instid1(VALU_DEP_1)
	v_div_fixup_f64 v[10:11], v[10:11], v[120:121], 1.0
	v_mul_f64 v[12:13], v[102:103], v[10:11]
	v_mul_f64 v[14:15], v[108:109], v[10:11]
	;; [unrolled: 1-line block ×10, first 2 shown]
	v_mul_f64 v[112:113], v[14:15], -v[84:85]
	v_mul_f64 v[244:245], v[14:15], -s[10:11]
	v_mul_f64 v[252:253], s[10:11], v[14:15]
	v_mul_f64 v[116:117], v[102:103], -v[84:85]
	v_mul_f64 v[246:247], v[102:103], -s[10:11]
	;; [unrolled: 1-line block ×4, first 2 shown]
	v_mul_f64 v[250:251], v[84:85], v[104:105]
	v_mul_f64 v[254:255], s[10:11], v[104:105]
	v_fma_f64 v[114:115], v[14:15], -v[84:85], v[106:107]
	v_fma_f64 v[122:123], v[84:85], v[14:15], v[106:107]
	s_delay_alu instid0(VALU_DEP_2) | instskip(SKIP_1) | instid1(VALU_DEP_3)
	v_fma_f64 v[168:169], v[8:9], v[100:101], v[114:115]
	v_mul_f64 v[114:115], v[108:109], 0
	v_fma_f64 v[156:157], s[12:13], v[100:101], v[122:123]
	v_mul_f64 v[122:123], v[84:85], v[102:103]
	s_delay_alu instid0(VALU_DEP_3) | instskip(SKIP_1) | instid1(VALU_DEP_2)
	v_fma_f64 v[118:119], v[102:103], -v[84:85], v[114:115]
	v_fma_f64 v[124:125], v[84:85], v[102:103], v[114:115]
	v_fma_f64 v[172:173], v[8:9], v[110:111], v[118:119]
	v_mul_f64 v[118:119], v[240:241], 0
	s_delay_alu instid0(VALU_DEP_3) | instskip(NEXT) | instid1(VALU_DEP_2)
	v_fma_f64 v[160:161], s[12:13], v[110:111], v[124:125]
	v_fma_f64 v[120:121], v[104:105], -v[84:85], v[118:119]
	v_fma_f64 v[124:125], v[84:85], v[104:105], v[118:119]
	s_delay_alu instid0(VALU_DEP_2) | instskip(SKIP_2) | instid1(VALU_DEP_4)
	v_fma_f64 v[170:171], v[8:9], v[10:11], v[120:121]
	v_fma_f64 v[120:121], v[14:15], -s[10:11], v[106:107]
	v_fma_f64 v[106:107], s[10:11], v[14:15], v[106:107]
	v_fma_f64 v[158:159], s[12:13], v[10:11], v[124:125]
	s_delay_alu instid0(VALU_DEP_3)
	v_fma_f64 v[162:163], -v[100:101], v[8:9], v[120:121]
	v_fma_f64 v[120:121], v[102:103], -s[10:11], v[114:115]
	v_fma_f64 v[114:115], s[10:11], v[102:103], v[114:115]
	v_fma_f64 v[150:151], -v[100:101], s[12:13], v[106:107]
	v_mul_f64 v[106:107], s[10:11], v[102:103]
	v_mul_f64 v[102:103], v[102:103], 0
	v_fma_f64 v[164:165], -v[110:111], v[8:9], v[120:121]
	v_fma_f64 v[120:121], v[104:105], -s[10:11], v[118:119]
	v_fma_f64 v[152:153], -v[110:111], s[12:13], v[114:115]
	v_fma_f64 v[114:115], s[10:11], v[104:105], v[118:119]
	v_mul_f64 v[104:105], v[104:105], 0
	s_delay_alu instid0(VALU_DEP_4) | instskip(SKIP_3) | instid1(VALU_DEP_2)
	v_fma_f64 v[166:167], -v[10:11], v[8:9], v[120:121]
	v_mul_f64 v[120:121], v[84:85], v[14:15]
	v_mul_f64 v[14:15], v[14:15], 0
	v_fma_f64 v[154:155], -v[10:11], s[12:13], v[114:115]
	v_fma_f64 v[114:115], v[82:83], v[12:13], v[14:15]
	s_delay_alu instid0(VALU_DEP_1) | instskip(SKIP_1) | instid1(VALU_DEP_1)
	v_fma_f64 v[144:145], v[100:101], -v[8:9], v[114:115]
	v_fma_f64 v[114:115], v[82:83], v[108:109], v[102:103]
	v_fma_f64 v[148:149], v[110:111], -v[8:9], v[114:115]
	v_fma_f64 v[114:115], v[82:83], v[240:241], v[104:105]
	s_delay_alu instid0(VALU_DEP_1) | instskip(SKIP_1) | instid1(VALU_DEP_1)
	v_fma_f64 v[146:147], v[10:11], -v[8:9], v[114:115]
	v_fma_f64 v[114:115], s[8:9], v[12:13], v[14:15]
	v_fma_f64 v[138:139], v[8:9], v[100:101], v[114:115]
	;; [unrolled: 1-line block ×3, first 2 shown]
	s_delay_alu instid0(VALU_DEP_1) | instskip(SKIP_1) | instid1(VALU_DEP_1)
	v_fma_f64 v[140:141], v[8:9], v[110:111], v[114:115]
	v_fma_f64 v[114:115], s[8:9], v[240:241], v[104:105]
	;; [unrolled: 1-line block ×3, first 2 shown]
	v_fma_f64 v[8:9], -v[12:13], v[82:83], v[14:15]
	s_delay_alu instid0(VALU_DEP_1) | instskip(SKIP_1) | instid1(VALU_DEP_1)
	v_fma_f64 v[132:133], v[100:101], -s[12:13], v[8:9]
	v_fma_f64 v[8:9], -v[108:109], v[82:83], v[102:103]
	v_fma_f64 v[136:137], v[110:111], -s[12:13], v[8:9]
	v_fma_f64 v[8:9], -v[240:241], v[82:83], v[104:105]
	s_delay_alu instid0(VALU_DEP_1) | instskip(SKIP_1) | instid1(VALU_DEP_1)
	v_fma_f64 v[134:135], v[10:11], -s[12:13], v[8:9]
	v_fma_f64 v[8:9], -v[12:13], s[8:9], v[14:15]
	v_fma_f64 v[126:127], s[12:13], v[100:101], v[8:9]
	v_fma_f64 v[8:9], -v[108:109], s[8:9], v[102:103]
	s_delay_alu instid0(VALU_DEP_1) | instskip(SKIP_1) | instid1(VALU_DEP_1)
	v_fma_f64 v[128:129], s[12:13], v[110:111], v[8:9]
	v_fma_f64 v[8:9], -v[240:241], s[8:9], v[104:105]
	v_fma_f64 v[130:131], s[12:13], v[10:11], v[8:9]
	v_fma_f64 v[8:9], v[12:13], -v[82:83], v[120:121]
	s_mov_b64 s[12:13], s[4:5]
	s_delay_alu instid0(VALU_DEP_1) | instskip(SKIP_1) | instid1(VALU_DEP_1)
	v_fma_f64 v[120:121], v[100:101], 0, v[8:9]
	v_fma_f64 v[8:9], v[108:109], -v[82:83], v[122:123]
	v_fma_f64 v[124:125], v[110:111], 0, v[8:9]
	v_fma_f64 v[8:9], v[240:241], -v[82:83], v[250:251]
	s_delay_alu instid0(VALU_DEP_1) | instskip(SKIP_1) | instid1(VALU_DEP_1)
	v_fma_f64 v[122:123], v[10:11], 0, v[8:9]
	v_fma_f64 v[8:9], v[12:13], -s[8:9], v[112:113]
	v_fma_f64 v[114:115], v[100:101], 0, v[8:9]
	v_fma_f64 v[8:9], v[108:109], -s[8:9], v[116:117]
	s_delay_alu instid0(VALU_DEP_1) | instskip(SKIP_1) | instid1(VALU_DEP_1)
	v_fma_f64 v[116:117], v[110:111], 0, v[8:9]
	v_fma_f64 v[8:9], v[240:241], -s[8:9], v[242:243]
	v_fma_f64 v[118:119], v[10:11], 0, v[8:9]
	v_fma_f64 v[8:9], v[82:83], v[12:13], v[252:253]
	scratch_load_b128 v[250:253], off, off offset:48
	v_fma_f64 v[104:105], v[100:101], 0, v[8:9]
	v_fma_f64 v[8:9], v[82:83], v[108:109], v[106:107]
	s_delay_alu instid0(VALU_DEP_1) | instskip(SKIP_1) | instid1(VALU_DEP_1)
	v_fma_f64 v[112:113], v[110:111], 0, v[8:9]
	v_fma_f64 v[8:9], v[82:83], v[240:241], v[254:255]
	;; [unrolled: 1-line block ×4, first 2 shown]
	scratch_load_b128 v[242:245], off, off offset:16
	v_fma_f64 v[102:103], v[100:101], 0, v[8:9]
	v_fma_f64 v[8:9], s[8:9], v[108:109], v[246:247]
	v_ldexp_f64 v[100:101], |v[238:239]|, -3
	s_delay_alu instid0(VALU_DEP_2)
	v_fma_f64 v[108:109], v[110:111], 0, v[8:9]
	v_fma_f64 v[8:9], s[8:9], v[240:241], v[248:249]
	s_clause 0x1
	scratch_load_b128 v[238:241], off, off
	scratch_load_b128 v[246:249], off, off offset:32
	v_fma_f64 v[110:111], v[10:11], 0, v[8:9]
	v_mul_f64 v[8:9], v[234:235], v[234:235]
	s_delay_alu instid0(VALU_DEP_1) | instskip(NEXT) | instid1(VALU_DEP_1)
	v_fma_f64 v[8:9], v[232:233], v[232:233], v[8:9]
	v_fma_f64 v[8:9], v[236:237], v[236:237], v[8:9]
	s_waitcnt vmcnt(1)
	s_delay_alu instid0(VALU_DEP_1) | instskip(SKIP_1) | instid1(VALU_DEP_1)
	v_fma_f64 v[238:239], v[100:101], v[8:9], v[238:239]
	v_mul_f64 v[8:9], v[234:235], v[228:229]
	v_fma_f64 v[8:9], v[232:233], v[226:227], v[8:9]
	s_delay_alu instid0(VALU_DEP_1) | instskip(NEXT) | instid1(VALU_DEP_1)
	v_fma_f64 v[8:9], v[236:237], v[230:231], v[8:9]
	v_fma_f64 v[240:241], v[100:101], v[8:9], v[240:241]
	v_mul_f64 v[8:9], v[234:235], v[224:225]
	s_delay_alu instid0(VALU_DEP_1) | instskip(NEXT) | instid1(VALU_DEP_1)
	v_fma_f64 v[8:9], v[232:233], v[220:221], v[8:9]
	v_fma_f64 v[8:9], v[236:237], v[222:223], v[8:9]
	s_delay_alu instid0(VALU_DEP_1) | instskip(SKIP_1) | instid1(VALU_DEP_1)
	v_fma_f64 v[242:243], v[100:101], v[8:9], v[242:243]
	v_mul_f64 v[8:9], v[234:235], v[216:217]
	v_fma_f64 v[8:9], v[232:233], v[214:215], v[8:9]
	s_delay_alu instid0(VALU_DEP_1) | instskip(NEXT) | instid1(VALU_DEP_1)
	v_fma_f64 v[8:9], v[236:237], v[218:219], v[8:9]
	v_fma_f64 v[244:245], v[100:101], v[8:9], v[244:245]
	v_mul_f64 v[8:9], v[234:235], v[212:213]
	s_clause 0x1
	scratch_store_b128 off, v[238:241], off
	scratch_store_b128 off, v[242:245], off offset:16
	v_fma_f64 v[8:9], v[232:233], v[208:209], v[8:9]
	s_delay_alu instid0(VALU_DEP_1) | instskip(SKIP_1) | instid1(VALU_DEP_1)
	v_fma_f64 v[8:9], v[236:237], v[210:211], v[8:9]
	s_waitcnt vmcnt(0)
	v_fma_f64 v[246:247], v[100:101], v[8:9], v[246:247]
	v_mul_f64 v[8:9], v[234:235], v[204:205]
	s_delay_alu instid0(VALU_DEP_1) | instskip(NEXT) | instid1(VALU_DEP_1)
	v_fma_f64 v[8:9], v[232:233], v[202:203], v[8:9]
	v_fma_f64 v[8:9], v[236:237], v[206:207], v[8:9]
	s_delay_alu instid0(VALU_DEP_1) | instskip(SKIP_1) | instid1(VALU_DEP_1)
	v_fma_f64 v[248:249], v[100:101], v[8:9], v[248:249]
	v_mul_f64 v[8:9], v[234:235], v[200:201]
	v_fma_f64 v[8:9], v[232:233], v[196:197], v[8:9]
	s_delay_alu instid0(VALU_DEP_1) | instskip(NEXT) | instid1(VALU_DEP_1)
	v_fma_f64 v[8:9], v[236:237], v[198:199], v[8:9]
	v_fma_f64 v[250:251], v[100:101], v[8:9], v[250:251]
	v_mul_f64 v[8:9], v[234:235], v[192:193]
	s_delay_alu instid0(VALU_DEP_1) | instskip(NEXT) | instid1(VALU_DEP_1)
	v_fma_f64 v[8:9], v[232:233], v[190:191], v[8:9]
	v_fma_f64 v[8:9], v[236:237], v[194:195], v[8:9]
	s_delay_alu instid0(VALU_DEP_1) | instskip(SKIP_1) | instid1(VALU_DEP_1)
	v_fma_f64 v[252:253], v[100:101], v[8:9], v[252:253]
	v_mul_f64 v[8:9], v[234:235], v[188:189]
	v_fma_f64 v[8:9], v[232:233], v[184:185], v[8:9]
	s_delay_alu instid0(VALU_DEP_1) | instskip(SKIP_4) | instid1(VALU_DEP_1)
	v_fma_f64 v[12:13], v[236:237], v[186:187], v[8:9]
	scratch_load_b128 v[8:11], off, off offset:64
	s_waitcnt vmcnt(0)
	v_fma_f64 v[8:9], v[100:101], v[12:13], v[8:9]
	v_mul_f64 v[12:13], v[234:235], v[182:183]
	v_fma_f64 v[12:13], v[232:233], v[178:179], v[12:13]
	s_delay_alu instid0(VALU_DEP_1) | instskip(NEXT) | instid1(VALU_DEP_1)
	v_fma_f64 v[12:13], v[236:237], v[180:181], v[12:13]
	v_fma_f64 v[10:11], v[100:101], v[12:13], v[10:11]
	v_mul_f64 v[12:13], v[234:235], v[176:177]
	v_mul_f64 v[234:235], v[234:235], v[4:5]
	s_clause 0x1
	scratch_store_b128 off, v[246:249], off offset:32
	scratch_store_b128 off, v[8:11], off offset:64
	v_fma_f64 v[12:13], v[232:233], v[174:175], v[12:13]
	v_fma_f64 v[232:233], v[232:233], v[0:1], v[234:235]
	s_delay_alu instid0(VALU_DEP_2) | instskip(SKIP_3) | instid1(VALU_DEP_1)
	v_fma_f64 v[238:239], v[236:237], v[6:7], v[12:13]
	scratch_load_b128 v[12:15], off, off offset:80
	v_fma_f64 v[232:233], v[236:237], v[2:3], v[232:233]
	s_waitcnt vmcnt(0)
	v_fma_f64 v[14:15], v[100:101], v[232:233], v[14:15]
	v_mul_f64 v[232:233], v[228:229], v[228:229]
	v_fma_f64 v[12:13], v[100:101], v[238:239], v[12:13]
	s_delay_alu instid0(VALU_DEP_2) | instskip(NEXT) | instid1(VALU_DEP_1)
	v_fma_f64 v[232:233], v[226:227], v[226:227], v[232:233]
	v_fma_f64 v[236:237], v[230:231], v[230:231], v[232:233]
	scratch_load_b128 v[232:235], off, off offset:104
	s_waitcnt vmcnt(0)
	v_fma_f64 v[238:239], v[100:101], v[236:237], v[232:233]
	v_mul_f64 v[232:233], v[228:229], v[224:225]
	v_dual_mov_b32 v236, v240 :: v_dual_mov_b32 v237, v241
	s_clause 0x1
	scratch_store_b128 off, v[12:15], off offset:80
	scratch_store_b128 off, v[236:239], off offset:96
	v_fma_f64 v[232:233], v[226:227], v[220:221], v[232:233]
	s_delay_alu instid0(VALU_DEP_1) | instskip(NEXT) | instid1(VALU_DEP_1)
	v_fma_f64 v[232:233], v[230:231], v[222:223], v[232:233]
	v_fma_f64 v[232:233], v[100:101], v[232:233], v[234:235]
	v_dual_mov_b32 v234, v242 :: v_dual_mov_b32 v235, v243
	v_dual_mov_b32 v236, v244 :: v_dual_mov_b32 v237, v245
	s_delay_alu instid0(VALU_DEP_3) | instskip(SKIP_2) | instid1(VALU_DEP_1)
	v_dual_mov_b32 v236, v232 :: v_dual_mov_b32 v237, v233
	scratch_store_b128 off, v[234:237], off offset:192
	v_mul_f64 v[234:235], v[228:229], v[216:217]
	v_fma_f64 v[234:235], v[226:227], v[214:215], v[234:235]
	s_delay_alu instid0(VALU_DEP_1)
	v_fma_f64 v[238:239], v[230:231], v[218:219], v[234:235]
	scratch_load_b128 v[234:237], off, off offset:120
	s_waitcnt vmcnt(0)
	v_fma_f64 v[234:235], v[100:101], v[238:239], v[234:235]
	scratch_store_b128 off, v[232:235], off offset:112
	v_dual_mov_b32 v232, v244 :: v_dual_mov_b32 v233, v245
	scratch_store_b128 off, v[232:235], off offset:288
	v_mul_f64 v[232:233], v[228:229], v[212:213]
	s_delay_alu instid0(VALU_DEP_1) | instskip(NEXT) | instid1(VALU_DEP_1)
	v_fma_f64 v[232:233], v[226:227], v[208:209], v[232:233]
	v_fma_f64 v[232:233], v[230:231], v[210:211], v[232:233]
	s_delay_alu instid0(VALU_DEP_1) | instskip(SKIP_2) | instid1(VALU_DEP_3)
	v_fma_f64 v[232:233], v[100:101], v[232:233], v[236:237]
	v_dual_mov_b32 v234, v246 :: v_dual_mov_b32 v235, v247
	v_dual_mov_b32 v236, v248 :: v_dual_mov_b32 v237, v249
	;; [unrolled: 1-line block ×3, first 2 shown]
	scratch_store_b128 off, v[234:237], off offset:384
	v_mul_f64 v[234:235], v[228:229], v[204:205]
	s_delay_alu instid0(VALU_DEP_1) | instskip(NEXT) | instid1(VALU_DEP_1)
	v_fma_f64 v[234:235], v[226:227], v[202:203], v[234:235]
	v_fma_f64 v[238:239], v[230:231], v[206:207], v[234:235]
	scratch_load_b128 v[234:237], off, off offset:136
	s_waitcnt vmcnt(0)
	v_fma_f64 v[234:235], v[100:101], v[238:239], v[234:235]
	scratch_store_b128 off, v[232:235], off offset:128
	v_dual_mov_b32 v232, v248 :: v_dual_mov_b32 v233, v249
	scratch_store_b128 off, v[232:235], off offset:480
	v_mul_f64 v[232:233], v[228:229], v[200:201]
	s_delay_alu instid0(VALU_DEP_1) | instskip(NEXT) | instid1(VALU_DEP_1)
	v_fma_f64 v[232:233], v[226:227], v[196:197], v[232:233]
	v_fma_f64 v[232:233], v[230:231], v[198:199], v[232:233]
	s_delay_alu instid0(VALU_DEP_1) | instskip(SKIP_2) | instid1(VALU_DEP_3)
	v_fma_f64 v[232:233], v[100:101], v[232:233], v[236:237]
	v_dual_mov_b32 v234, v250 :: v_dual_mov_b32 v235, v251
	v_dual_mov_b32 v236, v252 :: v_dual_mov_b32 v237, v253
	;; [unrolled: 1-line block ×3, first 2 shown]
	scratch_store_b128 off, v[234:237], off offset:576
	v_mul_f64 v[234:235], v[228:229], v[192:193]
	s_delay_alu instid0(VALU_DEP_1) | instskip(NEXT) | instid1(VALU_DEP_1)
	v_fma_f64 v[234:235], v[226:227], v[190:191], v[234:235]
	v_fma_f64 v[238:239], v[230:231], v[194:195], v[234:235]
	scratch_load_b128 v[234:237], off, off offset:152
	s_waitcnt vmcnt(0)
	v_fma_f64 v[234:235], v[100:101], v[238:239], v[234:235]
	scratch_store_b128 off, v[232:235], off offset:144
	v_dual_mov_b32 v232, v252 :: v_dual_mov_b32 v233, v253
	scratch_store_b128 off, v[232:235], off offset:672
	v_mul_f64 v[232:233], v[228:229], v[188:189]
	s_delay_alu instid0(VALU_DEP_1) | instskip(NEXT) | instid1(VALU_DEP_1)
	v_fma_f64 v[232:233], v[226:227], v[184:185], v[232:233]
	v_fma_f64 v[232:233], v[230:231], v[186:187], v[232:233]
	s_delay_alu instid0(VALU_DEP_1) | instskip(SKIP_3) | instid1(VALU_DEP_4)
	v_fma_f64 v[232:233], v[100:101], v[232:233], v[236:237]
	v_dual_mov_b32 v237, v11 :: v_dual_mov_b32 v236, v10
	v_dual_mov_b32 v235, v9 :: v_dual_mov_b32 v234, v8
	v_mul_f64 v[8:9], v[228:229], v[182:183]
	v_dual_mov_b32 v236, v232 :: v_dual_mov_b32 v237, v233
	s_delay_alu instid0(VALU_DEP_2) | instskip(SKIP_4) | instid1(VALU_DEP_1)
	v_fma_f64 v[8:9], v[226:227], v[178:179], v[8:9]
	scratch_store_b128 off, v[234:237], off offset:768
	scratch_load_b128 v[234:237], off, off offset:168
	v_fma_f64 v[8:9], v[230:231], v[180:181], v[8:9]
	s_waitcnt vmcnt(0)
	v_fma_f64 v[234:235], v[100:101], v[8:9], v[234:235]
	v_mul_f64 v[8:9], v[228:229], v[176:177]
	scratch_store_b128 off, v[232:235], off offset:160
	v_fma_f64 v[8:9], v[226:227], v[174:175], v[8:9]
	v_dual_mov_b32 v232, v10 :: v_dual_mov_b32 v233, v11
	s_delay_alu instid0(VALU_DEP_2) | instskip(NEXT) | instid1(VALU_DEP_1)
	v_fma_f64 v[8:9], v[230:231], v[6:7], v[8:9]
	v_fma_f64 v[8:9], v[100:101], v[8:9], v[236:237]
	v_mov_b32_e32 v10, v12
	v_dual_mov_b32 v11, v13 :: v_dual_mov_b32 v12, v14
	s_delay_alu instid0(VALU_DEP_3) | instskip(NEXT) | instid1(VALU_DEP_4)
	v_dual_mov_b32 v13, v15 :: v_dual_mov_b32 v12, v8
	v_mov_b32_e32 v13, v9
	scratch_store_b128 off, v[10:13], off offset:960
	scratch_load_b64 v[12:13], off, off offset:184
	v_mul_f64 v[10:11], v[228:229], v[4:5]
	s_delay_alu instid0(VALU_DEP_1) | instskip(SKIP_3) | instid1(VALU_DEP_1)
	v_fma_f64 v[10:11], v[226:227], v[0:1], v[10:11]
	scratch_load_b128 v[226:229], off, off offset:240
	v_fma_f64 v[10:11], v[230:231], v[2:3], v[10:11]
	s_waitcnt vmcnt(1)
	v_fma_f64 v[10:11], v[100:101], v[10:11], v[12:13]
	scratch_store_b128 off, v[232:235], off offset:864
	s_clause 0x1
	scratch_load_b128 v[230:233], off, off offset:256
	scratch_load_b128 v[234:237], off, off offset:272
	scratch_store_b128 off, v[8:11], off offset:176
	v_dual_mov_b32 v8, v14 :: v_dual_mov_b32 v9, v15
	scratch_store_b128 off, v[8:11], off offset:1056
	v_mul_f64 v[8:9], v[224:225], v[224:225]
	s_delay_alu instid0(VALU_DEP_1) | instskip(NEXT) | instid1(VALU_DEP_1)
	v_fma_f64 v[8:9], v[220:221], v[220:221], v[8:9]
	v_fma_f64 v[12:13], v[222:223], v[222:223], v[8:9]
	scratch_load_b128 v[8:11], off, off offset:208
	s_waitcnt vmcnt(0)
	v_fma_f64 v[8:9], v[100:101], v[12:13], v[8:9]
	v_mul_f64 v[12:13], v[224:225], v[216:217]
	s_delay_alu instid0(VALU_DEP_1) | instskip(NEXT) | instid1(VALU_DEP_1)
	v_fma_f64 v[12:13], v[220:221], v[214:215], v[12:13]
	v_fma_f64 v[12:13], v[222:223], v[218:219], v[12:13]
	s_delay_alu instid0(VALU_DEP_1) | instskip(SKIP_4) | instid1(VALU_DEP_2)
	v_fma_f64 v[10:11], v[100:101], v[12:13], v[10:11]
	scratch_load_b128 v[12:15], off, off offset:224
	scratch_store_b128 off, v[8:11], off offset:208
	v_mul_f64 v[8:9], v[224:225], v[212:213]
	v_dual_mov_b32 v238, v10 :: v_dual_mov_b32 v239, v11
	v_fma_f64 v[8:9], v[220:221], v[208:209], v[8:9]
	s_delay_alu instid0(VALU_DEP_1) | instskip(SKIP_1) | instid1(VALU_DEP_1)
	v_fma_f64 v[8:9], v[222:223], v[210:211], v[8:9]
	s_waitcnt vmcnt(0)
	v_fma_f64 v[12:13], v[100:101], v[8:9], v[12:13]
	v_mul_f64 v[8:9], v[224:225], v[204:205]
	s_delay_alu instid0(VALU_DEP_1) | instskip(NEXT) | instid1(VALU_DEP_1)
	v_fma_f64 v[8:9], v[220:221], v[202:203], v[8:9]
	v_fma_f64 v[8:9], v[222:223], v[206:207], v[8:9]
	s_delay_alu instid0(VALU_DEP_1) | instskip(SKIP_3) | instid1(VALU_DEP_1)
	v_fma_f64 v[14:15], v[100:101], v[8:9], v[14:15]
	v_mul_f64 v[8:9], v[224:225], v[200:201]
	scratch_store_b128 off, v[12:15], off offset:224
	v_fma_f64 v[8:9], v[220:221], v[196:197], v[8:9]
	v_fma_f64 v[8:9], v[222:223], v[198:199], v[8:9]
	s_delay_alu instid0(VALU_DEP_1) | instskip(SKIP_1) | instid1(VALU_DEP_1)
	v_fma_f64 v[226:227], v[100:101], v[8:9], v[226:227]
	v_mul_f64 v[8:9], v[224:225], v[192:193]
	v_fma_f64 v[8:9], v[220:221], v[190:191], v[8:9]
	s_delay_alu instid0(VALU_DEP_1) | instskip(NEXT) | instid1(VALU_DEP_1)
	v_fma_f64 v[8:9], v[222:223], v[194:195], v[8:9]
	v_fma_f64 v[228:229], v[100:101], v[8:9], v[228:229]
	v_mul_f64 v[8:9], v[224:225], v[188:189]
	s_delay_alu instid0(VALU_DEP_1) | instskip(NEXT) | instid1(VALU_DEP_1)
	v_fma_f64 v[8:9], v[220:221], v[184:185], v[8:9]
	v_fma_f64 v[8:9], v[222:223], v[186:187], v[8:9]
	s_delay_alu instid0(VALU_DEP_1) | instskip(SKIP_1) | instid1(VALU_DEP_1)
	v_fma_f64 v[230:231], v[100:101], v[8:9], v[230:231]
	v_mul_f64 v[8:9], v[224:225], v[182:183]
	v_fma_f64 v[8:9], v[220:221], v[178:179], v[8:9]
	s_delay_alu instid0(VALU_DEP_1) | instskip(NEXT) | instid1(VALU_DEP_1)
	v_fma_f64 v[8:9], v[222:223], v[180:181], v[8:9]
	v_fma_f64 v[232:233], v[100:101], v[8:9], v[232:233]
	v_mul_f64 v[8:9], v[224:225], v[176:177]
	s_delay_alu instid0(VALU_DEP_1) | instskip(NEXT) | instid1(VALU_DEP_1)
	v_fma_f64 v[8:9], v[220:221], v[174:175], v[8:9]
	v_fma_f64 v[8:9], v[222:223], v[6:7], v[8:9]
	s_delay_alu instid0(VALU_DEP_1) | instskip(SKIP_1) | instid1(VALU_DEP_1)
	v_fma_f64 v[234:235], v[100:101], v[8:9], v[234:235]
	v_mul_f64 v[8:9], v[224:225], v[4:5]
	v_fma_f64 v[8:9], v[220:221], v[0:1], v[8:9]
	s_delay_alu instid0(VALU_DEP_1) | instskip(SKIP_3) | instid1(VALU_DEP_1)
	v_fma_f64 v[8:9], v[222:223], v[2:3], v[8:9]
	scratch_load_b128 v[220:223], off, off offset:312
	v_fma_f64 v[236:237], v[100:101], v[8:9], v[236:237]
	v_mul_f64 v[8:9], v[216:217], v[216:217]
	v_fma_f64 v[8:9], v[214:215], v[214:215], v[8:9]
	s_delay_alu instid0(VALU_DEP_1) | instskip(SKIP_1) | instid1(VALU_DEP_1)
	v_fma_f64 v[8:9], v[218:219], v[218:219], v[8:9]
	s_waitcnt vmcnt(0)
	v_fma_f64 v[240:241], v[100:101], v[8:9], v[220:221]
	v_mul_f64 v[8:9], v[216:217], v[212:213]
	s_delay_alu instid0(VALU_DEP_1) | instskip(NEXT) | instid1(VALU_DEP_1)
	v_fma_f64 v[8:9], v[214:215], v[208:209], v[8:9]
	v_fma_f64 v[8:9], v[218:219], v[210:211], v[8:9]
	s_delay_alu instid0(VALU_DEP_1) | instskip(SKIP_2) | instid1(VALU_DEP_3)
	v_fma_f64 v[8:9], v[100:101], v[8:9], v[222:223]
	v_mov_b32_e32 v10, v12
	v_dual_mov_b32 v11, v13 :: v_dual_mov_b32 v12, v14
	v_dual_mov_b32 v13, v15 :: v_dual_mov_b32 v12, v8
	s_delay_alu instid0(VALU_DEP_4) | instskip(SKIP_2) | instid1(VALU_DEP_1)
	v_mov_b32_e32 v13, v9
	scratch_store_b128 off, v[10:13], off offset:400
	v_mul_f64 v[10:11], v[216:217], v[204:205]
	v_fma_f64 v[10:11], v[214:215], v[202:203], v[10:11]
	s_delay_alu instid0(VALU_DEP_1)
	v_fma_f64 v[220:221], v[218:219], v[206:207], v[10:11]
	scratch_load_b128 v[10:13], off, off offset:328
	s_waitcnt vmcnt(0)
	v_fma_f64 v[10:11], v[100:101], v[220:221], v[10:11]
	scratch_store_b128 off, v[8:11], off offset:320
	v_dual_mov_b32 v8, v14 :: v_dual_mov_b32 v9, v15
	scratch_store_b128 off, v[8:11], off offset:496
	v_mul_f64 v[8:9], v[216:217], v[200:201]
	s_delay_alu instid0(VALU_DEP_1) | instskip(NEXT) | instid1(VALU_DEP_1)
	v_fma_f64 v[8:9], v[214:215], v[196:197], v[8:9]
	v_fma_f64 v[8:9], v[218:219], v[198:199], v[8:9]
	s_delay_alu instid0(VALU_DEP_1) | instskip(SKIP_2) | instid1(VALU_DEP_3)
	v_fma_f64 v[8:9], v[100:101], v[8:9], v[12:13]
	v_dual_mov_b32 v10, v226 :: v_dual_mov_b32 v11, v227
	v_dual_mov_b32 v12, v228 :: v_dual_mov_b32 v13, v229
	;; [unrolled: 1-line block ×3, first 2 shown]
	scratch_store_b128 off, v[10:13], off offset:592
	v_mul_f64 v[10:11], v[216:217], v[192:193]
	s_delay_alu instid0(VALU_DEP_1) | instskip(NEXT) | instid1(VALU_DEP_1)
	v_fma_f64 v[10:11], v[214:215], v[190:191], v[10:11]
	v_fma_f64 v[14:15], v[218:219], v[194:195], v[10:11]
	scratch_load_b128 v[10:13], off, off offset:344
	s_waitcnt vmcnt(0)
	v_fma_f64 v[10:11], v[100:101], v[14:15], v[10:11]
	scratch_store_b128 off, v[8:11], off offset:336
	v_dual_mov_b32 v8, v228 :: v_dual_mov_b32 v9, v229
	scratch_store_b128 off, v[8:11], off offset:688
	v_mul_f64 v[8:9], v[216:217], v[188:189]
	s_delay_alu instid0(VALU_DEP_1) | instskip(NEXT) | instid1(VALU_DEP_1)
	v_fma_f64 v[8:9], v[214:215], v[184:185], v[8:9]
	v_fma_f64 v[8:9], v[218:219], v[186:187], v[8:9]
	s_delay_alu instid0(VALU_DEP_1) | instskip(SKIP_2) | instid1(VALU_DEP_3)
	v_fma_f64 v[8:9], v[100:101], v[8:9], v[12:13]
	v_dual_mov_b32 v10, v230 :: v_dual_mov_b32 v11, v231
	v_dual_mov_b32 v12, v232 :: v_dual_mov_b32 v13, v233
	;; [unrolled: 1-line block ×3, first 2 shown]
	scratch_store_b128 off, v[10:13], off offset:784
	v_mul_f64 v[10:11], v[216:217], v[182:183]
	s_delay_alu instid0(VALU_DEP_1) | instskip(NEXT) | instid1(VALU_DEP_1)
	v_fma_f64 v[10:11], v[214:215], v[178:179], v[10:11]
	v_fma_f64 v[14:15], v[218:219], v[180:181], v[10:11]
	scratch_load_b128 v[10:13], off, off offset:360
	s_waitcnt vmcnt(0)
	v_fma_f64 v[10:11], v[100:101], v[14:15], v[10:11]
	scratch_store_b128 off, v[8:11], off offset:352
	v_dual_mov_b32 v8, v232 :: v_dual_mov_b32 v9, v233
	scratch_store_b128 off, v[8:11], off offset:880
	v_mul_f64 v[8:9], v[216:217], v[176:177]
	s_delay_alu instid0(VALU_DEP_1) | instskip(NEXT) | instid1(VALU_DEP_1)
	v_fma_f64 v[8:9], v[214:215], v[174:175], v[8:9]
	v_fma_f64 v[8:9], v[218:219], v[6:7], v[8:9]
	s_delay_alu instid0(VALU_DEP_1) | instskip(SKIP_2) | instid1(VALU_DEP_3)
	v_fma_f64 v[8:9], v[100:101], v[8:9], v[12:13]
	v_dual_mov_b32 v10, v234 :: v_dual_mov_b32 v11, v235
	v_dual_mov_b32 v12, v236 :: v_dual_mov_b32 v13, v237
	;; [unrolled: 1-line block ×3, first 2 shown]
	scratch_store_b128 off, v[10:13], off offset:976
	scratch_load_b64 v[12:13], off, off offset:376
	v_mul_f64 v[10:11], v[216:217], v[4:5]
	s_delay_alu instid0(VALU_DEP_1)
	v_fma_f64 v[10:11], v[214:215], v[0:1], v[10:11]
	scratch_load_b128 v[214:217], off, off offset:448
	v_fma_f64 v[10:11], v[218:219], v[2:3], v[10:11]
	scratch_load_b128 v[218:221], off, off offset:464
	s_waitcnt vmcnt(2)
	v_fma_f64 v[10:11], v[100:101], v[10:11], v[12:13]
	scratch_store_b128 off, v[8:11], off offset:368
	v_dual_mov_b32 v8, v236 :: v_dual_mov_b32 v9, v237
	scratch_store_b128 off, v[8:11], off offset:1072
	v_mul_f64 v[8:9], v[212:213], v[212:213]
	s_delay_alu instid0(VALU_DEP_1) | instskip(NEXT) | instid1(VALU_DEP_1)
	v_fma_f64 v[8:9], v[208:209], v[208:209], v[8:9]
	v_fma_f64 v[12:13], v[210:211], v[210:211], v[8:9]
	scratch_load_b128 v[8:11], off, off offset:416
	s_waitcnt vmcnt(0)
	v_fma_f64 v[8:9], v[100:101], v[12:13], v[8:9]
	v_mul_f64 v[12:13], v[212:213], v[204:205]
	s_delay_alu instid0(VALU_DEP_1) | instskip(NEXT) | instid1(VALU_DEP_1)
	v_fma_f64 v[12:13], v[208:209], v[202:203], v[12:13]
	v_fma_f64 v[12:13], v[210:211], v[206:207], v[12:13]
	s_delay_alu instid0(VALU_DEP_1) | instskip(SKIP_4) | instid1(VALU_DEP_2)
	v_fma_f64 v[10:11], v[100:101], v[12:13], v[10:11]
	scratch_load_b128 v[12:15], off, off offset:432
	scratch_store_b128 off, v[8:11], off offset:416
	v_mul_f64 v[8:9], v[212:213], v[200:201]
	v_dual_mov_b32 v222, v10 :: v_dual_mov_b32 v223, v11
	v_fma_f64 v[8:9], v[208:209], v[196:197], v[8:9]
	s_delay_alu instid0(VALU_DEP_1) | instskip(SKIP_1) | instid1(VALU_DEP_1)
	v_fma_f64 v[8:9], v[210:211], v[198:199], v[8:9]
	s_waitcnt vmcnt(0)
	v_fma_f64 v[12:13], v[100:101], v[8:9], v[12:13]
	v_mul_f64 v[8:9], v[212:213], v[192:193]
	s_delay_alu instid0(VALU_DEP_1) | instskip(NEXT) | instid1(VALU_DEP_1)
	v_fma_f64 v[8:9], v[208:209], v[190:191], v[8:9]
	v_fma_f64 v[8:9], v[210:211], v[194:195], v[8:9]
	s_delay_alu instid0(VALU_DEP_1) | instskip(SKIP_3) | instid1(VALU_DEP_1)
	v_fma_f64 v[14:15], v[100:101], v[8:9], v[14:15]
	v_mul_f64 v[8:9], v[212:213], v[188:189]
	scratch_store_b128 off, v[12:15], off offset:432
	v_fma_f64 v[8:9], v[208:209], v[184:185], v[8:9]
	v_fma_f64 v[8:9], v[210:211], v[186:187], v[8:9]
	s_delay_alu instid0(VALU_DEP_1) | instskip(SKIP_1) | instid1(VALU_DEP_1)
	v_fma_f64 v[214:215], v[100:101], v[8:9], v[214:215]
	v_mul_f64 v[8:9], v[212:213], v[182:183]
	v_fma_f64 v[8:9], v[208:209], v[178:179], v[8:9]
	s_delay_alu instid0(VALU_DEP_1) | instskip(NEXT) | instid1(VALU_DEP_1)
	v_fma_f64 v[8:9], v[210:211], v[180:181], v[8:9]
	v_fma_f64 v[216:217], v[100:101], v[8:9], v[216:217]
	v_mul_f64 v[8:9], v[212:213], v[176:177]
	s_delay_alu instid0(VALU_DEP_1) | instskip(NEXT) | instid1(VALU_DEP_1)
	v_fma_f64 v[8:9], v[208:209], v[174:175], v[8:9]
	v_fma_f64 v[8:9], v[210:211], v[6:7], v[8:9]
	s_delay_alu instid0(VALU_DEP_1) | instskip(SKIP_1) | instid1(VALU_DEP_1)
	v_fma_f64 v[218:219], v[100:101], v[8:9], v[218:219]
	v_mul_f64 v[8:9], v[212:213], v[4:5]
	v_fma_f64 v[8:9], v[208:209], v[0:1], v[8:9]
	s_delay_alu instid0(VALU_DEP_1) | instskip(SKIP_3) | instid1(VALU_DEP_1)
	v_fma_f64 v[8:9], v[210:211], v[2:3], v[8:9]
	scratch_load_b128 v[208:211], off, off offset:520
	v_fma_f64 v[220:221], v[100:101], v[8:9], v[220:221]
	v_mul_f64 v[8:9], v[204:205], v[204:205]
	v_fma_f64 v[8:9], v[202:203], v[202:203], v[8:9]
	s_delay_alu instid0(VALU_DEP_1) | instskip(SKIP_1) | instid1(VALU_DEP_1)
	v_fma_f64 v[8:9], v[206:207], v[206:207], v[8:9]
	s_waitcnt vmcnt(0)
	v_fma_f64 v[224:225], v[100:101], v[8:9], v[208:209]
	v_mul_f64 v[8:9], v[204:205], v[200:201]
	s_delay_alu instid0(VALU_DEP_1) | instskip(NEXT) | instid1(VALU_DEP_1)
	v_fma_f64 v[8:9], v[202:203], v[196:197], v[8:9]
	v_fma_f64 v[8:9], v[206:207], v[198:199], v[8:9]
	s_delay_alu instid0(VALU_DEP_1) | instskip(SKIP_2) | instid1(VALU_DEP_3)
	v_fma_f64 v[8:9], v[100:101], v[8:9], v[210:211]
	v_mov_b32_e32 v10, v12
	v_dual_mov_b32 v11, v13 :: v_dual_mov_b32 v12, v14
	v_dual_mov_b32 v13, v15 :: v_dual_mov_b32 v12, v8
	s_delay_alu instid0(VALU_DEP_4) | instskip(SKIP_2) | instid1(VALU_DEP_1)
	v_mov_b32_e32 v13, v9
	scratch_store_b128 off, v[10:13], off offset:608
	v_mul_f64 v[10:11], v[204:205], v[192:193]
	v_fma_f64 v[10:11], v[202:203], v[190:191], v[10:11]
	s_delay_alu instid0(VALU_DEP_1)
	v_fma_f64 v[208:209], v[206:207], v[194:195], v[10:11]
	scratch_load_b128 v[10:13], off, off offset:536
	s_waitcnt vmcnt(0)
	v_fma_f64 v[10:11], v[100:101], v[208:209], v[10:11]
	scratch_store_b128 off, v[8:11], off offset:528
	v_dual_mov_b32 v8, v14 :: v_dual_mov_b32 v9, v15
	scratch_store_b128 off, v[8:11], off offset:704
	v_mul_f64 v[8:9], v[204:205], v[188:189]
	s_delay_alu instid0(VALU_DEP_1) | instskip(NEXT) | instid1(VALU_DEP_1)
	v_fma_f64 v[8:9], v[202:203], v[184:185], v[8:9]
	v_fma_f64 v[8:9], v[206:207], v[186:187], v[8:9]
	s_delay_alu instid0(VALU_DEP_1) | instskip(SKIP_2) | instid1(VALU_DEP_3)
	v_fma_f64 v[8:9], v[100:101], v[8:9], v[12:13]
	v_dual_mov_b32 v10, v214 :: v_dual_mov_b32 v11, v215
	v_dual_mov_b32 v12, v216 :: v_dual_mov_b32 v13, v217
	;; [unrolled: 1-line block ×3, first 2 shown]
	scratch_store_b128 off, v[10:13], off offset:800
	v_mul_f64 v[10:11], v[204:205], v[182:183]
	s_delay_alu instid0(VALU_DEP_1) | instskip(NEXT) | instid1(VALU_DEP_1)
	v_fma_f64 v[10:11], v[202:203], v[178:179], v[10:11]
	v_fma_f64 v[14:15], v[206:207], v[180:181], v[10:11]
	scratch_load_b128 v[10:13], off, off offset:552
	s_waitcnt vmcnt(0)
	v_fma_f64 v[10:11], v[100:101], v[14:15], v[10:11]
	scratch_store_b128 off, v[8:11], off offset:544
	v_dual_mov_b32 v8, v216 :: v_dual_mov_b32 v9, v217
	scratch_store_b128 off, v[8:11], off offset:896
	v_mul_f64 v[8:9], v[204:205], v[176:177]
	s_delay_alu instid0(VALU_DEP_1) | instskip(NEXT) | instid1(VALU_DEP_1)
	v_fma_f64 v[8:9], v[202:203], v[174:175], v[8:9]
	v_fma_f64 v[8:9], v[206:207], v[6:7], v[8:9]
	s_delay_alu instid0(VALU_DEP_1) | instskip(SKIP_2) | instid1(VALU_DEP_3)
	v_fma_f64 v[8:9], v[100:101], v[8:9], v[12:13]
	v_dual_mov_b32 v10, v218 :: v_dual_mov_b32 v11, v219
	v_dual_mov_b32 v12, v220 :: v_dual_mov_b32 v13, v221
	;; [unrolled: 1-line block ×3, first 2 shown]
	scratch_store_b128 off, v[10:13], off offset:992
	scratch_load_b64 v[12:13], off, off offset:568
	v_mul_f64 v[10:11], v[204:205], v[4:5]
	s_delay_alu instid0(VALU_DEP_1) | instskip(SKIP_3) | instid1(VALU_DEP_1)
	v_fma_f64 v[10:11], v[202:203], v[0:1], v[10:11]
	scratch_load_b128 v[202:205], off, off offset:656
	v_fma_f64 v[10:11], v[206:207], v[2:3], v[10:11]
	s_waitcnt vmcnt(1)
	v_fma_f64 v[10:11], v[100:101], v[10:11], v[12:13]
	scratch_store_b128 off, v[8:11], off offset:560
	v_dual_mov_b32 v8, v220 :: v_dual_mov_b32 v9, v221
	scratch_store_b128 off, v[8:11], off offset:1088
	v_mul_f64 v[8:9], v[200:201], v[200:201]
	s_delay_alu instid0(VALU_DEP_1) | instskip(NEXT) | instid1(VALU_DEP_1)
	v_fma_f64 v[8:9], v[196:197], v[196:197], v[8:9]
	v_fma_f64 v[12:13], v[198:199], v[198:199], v[8:9]
	scratch_load_b128 v[8:11], off, off offset:624
	s_waitcnt vmcnt(0)
	v_fma_f64 v[8:9], v[100:101], v[12:13], v[8:9]
	v_mul_f64 v[12:13], v[200:201], v[192:193]
	s_delay_alu instid0(VALU_DEP_1) | instskip(NEXT) | instid1(VALU_DEP_1)
	v_fma_f64 v[12:13], v[196:197], v[190:191], v[12:13]
	v_fma_f64 v[12:13], v[198:199], v[194:195], v[12:13]
	s_delay_alu instid0(VALU_DEP_1) | instskip(SKIP_4) | instid1(VALU_DEP_2)
	v_fma_f64 v[10:11], v[100:101], v[12:13], v[10:11]
	scratch_load_b128 v[12:15], off, off offset:640
	scratch_store_b128 off, v[8:11], off offset:624
	v_mul_f64 v[8:9], v[200:201], v[188:189]
	v_dual_mov_b32 v206, v10 :: v_dual_mov_b32 v207, v11
	v_fma_f64 v[8:9], v[196:197], v[184:185], v[8:9]
	s_delay_alu instid0(VALU_DEP_1) | instskip(SKIP_1) | instid1(VALU_DEP_1)
	v_fma_f64 v[8:9], v[198:199], v[186:187], v[8:9]
	s_waitcnt vmcnt(0)
	v_fma_f64 v[12:13], v[100:101], v[8:9], v[12:13]
	v_mul_f64 v[8:9], v[200:201], v[182:183]
	s_delay_alu instid0(VALU_DEP_1) | instskip(NEXT) | instid1(VALU_DEP_1)
	v_fma_f64 v[8:9], v[196:197], v[178:179], v[8:9]
	v_fma_f64 v[8:9], v[198:199], v[180:181], v[8:9]
	s_delay_alu instid0(VALU_DEP_1) | instskip(SKIP_3) | instid1(VALU_DEP_1)
	v_fma_f64 v[14:15], v[100:101], v[8:9], v[14:15]
	v_mul_f64 v[8:9], v[200:201], v[176:177]
	scratch_store_b128 off, v[12:15], off offset:640
	v_fma_f64 v[8:9], v[196:197], v[174:175], v[8:9]
	v_fma_f64 v[8:9], v[198:199], v[6:7], v[8:9]
	s_delay_alu instid0(VALU_DEP_1) | instskip(SKIP_1) | instid1(VALU_DEP_1)
	v_fma_f64 v[202:203], v[100:101], v[8:9], v[202:203]
	v_mul_f64 v[8:9], v[200:201], v[4:5]
	v_fma_f64 v[8:9], v[196:197], v[0:1], v[8:9]
	s_delay_alu instid0(VALU_DEP_1) | instskip(SKIP_3) | instid1(VALU_DEP_1)
	v_fma_f64 v[8:9], v[198:199], v[2:3], v[8:9]
	scratch_load_b128 v[196:199], off, off offset:728
	v_fma_f64 v[204:205], v[100:101], v[8:9], v[204:205]
	v_mul_f64 v[8:9], v[192:193], v[192:193]
	v_fma_f64 v[8:9], v[190:191], v[190:191], v[8:9]
	s_delay_alu instid0(VALU_DEP_1) | instskip(SKIP_1) | instid1(VALU_DEP_1)
	v_fma_f64 v[8:9], v[194:195], v[194:195], v[8:9]
	s_waitcnt vmcnt(0)
	v_fma_f64 v[208:209], v[100:101], v[8:9], v[196:197]
	v_mul_f64 v[8:9], v[192:193], v[188:189]
	s_delay_alu instid0(VALU_DEP_1) | instskip(NEXT) | instid1(VALU_DEP_1)
	v_fma_f64 v[8:9], v[190:191], v[184:185], v[8:9]
	v_fma_f64 v[8:9], v[194:195], v[186:187], v[8:9]
	s_delay_alu instid0(VALU_DEP_1) | instskip(SKIP_2) | instid1(VALU_DEP_3)
	v_fma_f64 v[8:9], v[100:101], v[8:9], v[198:199]
	v_mov_b32_e32 v10, v12
	v_dual_mov_b32 v11, v13 :: v_dual_mov_b32 v12, v14
	v_dual_mov_b32 v13, v15 :: v_dual_mov_b32 v12, v8
	s_delay_alu instid0(VALU_DEP_4) | instskip(SKIP_2) | instid1(VALU_DEP_1)
	v_mov_b32_e32 v13, v9
	scratch_store_b128 off, v[10:13], off offset:816
	v_mul_f64 v[10:11], v[192:193], v[182:183]
	v_fma_f64 v[10:11], v[190:191], v[178:179], v[10:11]
	s_delay_alu instid0(VALU_DEP_1)
	v_fma_f64 v[196:197], v[194:195], v[180:181], v[10:11]
	scratch_load_b128 v[10:13], off, off offset:744
	s_waitcnt vmcnt(0)
	v_fma_f64 v[10:11], v[100:101], v[196:197], v[10:11]
	scratch_store_b128 off, v[8:11], off offset:736
	v_dual_mov_b32 v8, v14 :: v_dual_mov_b32 v9, v15
	scratch_store_b128 off, v[8:11], off offset:912
	v_mul_f64 v[8:9], v[192:193], v[176:177]
	s_delay_alu instid0(VALU_DEP_1) | instskip(NEXT) | instid1(VALU_DEP_1)
	v_fma_f64 v[8:9], v[190:191], v[174:175], v[8:9]
	v_fma_f64 v[8:9], v[194:195], v[6:7], v[8:9]
	s_delay_alu instid0(VALU_DEP_1) | instskip(SKIP_2) | instid1(VALU_DEP_3)
	v_fma_f64 v[8:9], v[100:101], v[8:9], v[12:13]
	v_dual_mov_b32 v10, v202 :: v_dual_mov_b32 v11, v203
	v_dual_mov_b32 v12, v204 :: v_dual_mov_b32 v13, v205
	;; [unrolled: 1-line block ×3, first 2 shown]
	scratch_store_b128 off, v[10:13], off offset:1008
	scratch_load_b64 v[12:13], off, off offset:760
	v_mul_f64 v[10:11], v[192:193], v[4:5]
	s_delay_alu instid0(VALU_DEP_1) | instskip(NEXT) | instid1(VALU_DEP_1)
	v_fma_f64 v[10:11], v[190:191], v[0:1], v[10:11]
	v_fma_f64 v[10:11], v[194:195], v[2:3], v[10:11]
	s_waitcnt vmcnt(0)
	s_delay_alu instid0(VALU_DEP_1) | instskip(SKIP_4) | instid1(VALU_DEP_1)
	v_fma_f64 v[10:11], v[100:101], v[10:11], v[12:13]
	scratch_store_b128 off, v[8:11], off offset:752
	v_dual_mov_b32 v8, v204 :: v_dual_mov_b32 v9, v205
	scratch_store_b128 off, v[8:11], off offset:1104
	v_mul_f64 v[8:9], v[188:189], v[188:189]
	v_fma_f64 v[8:9], v[184:185], v[184:185], v[8:9]
	s_delay_alu instid0(VALU_DEP_1) | instskip(SKIP_4) | instid1(VALU_DEP_1)
	v_fma_f64 v[12:13], v[186:187], v[186:187], v[8:9]
	scratch_load_b128 v[8:11], off, off offset:832
	s_waitcnt vmcnt(0)
	v_fma_f64 v[8:9], v[100:101], v[12:13], v[8:9]
	v_mul_f64 v[12:13], v[188:189], v[182:183]
	v_fma_f64 v[12:13], v[184:185], v[178:179], v[12:13]
	s_delay_alu instid0(VALU_DEP_1) | instskip(NEXT) | instid1(VALU_DEP_1)
	v_fma_f64 v[12:13], v[186:187], v[180:181], v[12:13]
	v_fma_f64 v[10:11], v[100:101], v[12:13], v[10:11]
	scratch_load_b128 v[12:15], off, off offset:848
	scratch_store_b128 off, v[8:11], off offset:832
	v_mul_f64 v[8:9], v[188:189], v[176:177]
	s_delay_alu instid0(VALU_DEP_1) | instskip(NEXT) | instid1(VALU_DEP_1)
	v_fma_f64 v[8:9], v[184:185], v[174:175], v[8:9]
	v_fma_f64 v[8:9], v[186:187], v[6:7], v[8:9]
	s_waitcnt vmcnt(0)
	s_delay_alu instid0(VALU_DEP_1) | instskip(SKIP_2) | instid1(VALU_DEP_2)
	v_fma_f64 v[12:13], v[100:101], v[8:9], v[12:13]
	v_mul_f64 v[8:9], v[188:189], v[4:5]
	v_dual_mov_b32 v188, v10 :: v_dual_mov_b32 v189, v11
	v_fma_f64 v[8:9], v[184:185], v[0:1], v[8:9]
	s_delay_alu instid0(VALU_DEP_1)
	v_fma_f64 v[8:9], v[186:187], v[2:3], v[8:9]
	scratch_load_b128 v[184:187], off, off offset:936
	v_fma_f64 v[14:15], v[100:101], v[8:9], v[14:15]
	v_mul_f64 v[8:9], v[182:183], v[182:183]
	scratch_store_b128 off, v[12:15], off offset:848
	v_fma_f64 v[8:9], v[178:179], v[178:179], v[8:9]
	s_delay_alu instid0(VALU_DEP_1) | instskip(SKIP_1) | instid1(VALU_DEP_1)
	v_fma_f64 v[8:9], v[180:181], v[180:181], v[8:9]
	s_waitcnt vmcnt(0)
	v_fma_f64 v[190:191], v[100:101], v[8:9], v[184:185]
	v_mul_f64 v[8:9], v[182:183], v[176:177]
	s_delay_alu instid0(VALU_DEP_1) | instskip(NEXT) | instid1(VALU_DEP_1)
	v_fma_f64 v[8:9], v[178:179], v[174:175], v[8:9]
	v_fma_f64 v[8:9], v[180:181], v[6:7], v[8:9]
	s_delay_alu instid0(VALU_DEP_1) | instskip(SKIP_2) | instid1(VALU_DEP_3)
	v_fma_f64 v[8:9], v[100:101], v[8:9], v[186:187]
	v_mov_b32_e32 v10, v12
	v_dual_mov_b32 v11, v13 :: v_dual_mov_b32 v12, v14
	v_dual_mov_b32 v13, v15 :: v_dual_mov_b32 v12, v8
	s_delay_alu instid0(VALU_DEP_4) | instskip(SKIP_3) | instid1(VALU_DEP_1)
	v_mov_b32_e32 v13, v9
	scratch_store_b128 off, v[10:13], off offset:1024
	scratch_load_b64 v[12:13], off, off offset:952
	v_mul_f64 v[10:11], v[182:183], v[4:5]
	v_fma_f64 v[10:11], v[178:179], v[0:1], v[10:11]
	s_delay_alu instid0(VALU_DEP_1)
	v_fma_f64 v[10:11], v[180:181], v[2:3], v[10:11]
	scratch_load_b128 v[178:181], off, off offset:80
	s_waitcnt vmcnt(1)
	v_fma_f64 v[10:11], v[100:101], v[10:11], v[12:13]
	scratch_store_b128 off, v[8:11], off offset:944
	v_dual_mov_b32 v8, v14 :: v_dual_mov_b32 v9, v15
	scratch_store_b128 off, v[8:11], off offset:1120
	v_mul_f64 v[8:9], v[176:177], v[176:177]
	s_delay_alu instid0(VALU_DEP_1) | instskip(NEXT) | instid1(VALU_DEP_1)
	v_fma_f64 v[8:9], v[174:175], v[174:175], v[8:9]
	v_fma_f64 v[12:13], v[6:7], v[6:7], v[8:9]
	scratch_load_b128 v[8:11], off, off offset:1040
	s_waitcnt vmcnt(0)
	v_fma_f64 v[8:9], v[100:101], v[12:13], v[8:9]
	v_mul_f64 v[12:13], v[176:177], v[4:5]
	v_mul_f64 v[4:5], v[4:5], v[4:5]
	s_delay_alu instid0(VALU_DEP_2) | instskip(NEXT) | instid1(VALU_DEP_2)
	v_fma_f64 v[12:13], v[174:175], v[0:1], v[12:13]
	v_fma_f64 v[0:1], v[0:1], v[0:1], v[4:5]
	scratch_load_b128 v[174:177], off, off offset:64
	v_fma_f64 v[6:7], v[6:7], v[2:3], v[12:13]
	v_fma_f64 v[0:1], v[2:3], v[2:3], v[0:1]
	scratch_load_b64 v[2:3], off, off offset:1144
	v_fma_f64 v[10:11], v[100:101], v[6:7], v[10:11]
	s_waitcnt vmcnt(0)
	v_fma_f64 v[2:3], v[100:101], v[0:1], v[2:3]
	s_delay_alu instid0(VALU_DEP_2) | instskip(SKIP_4) | instid1(VALU_DEP_1)
	v_dual_mov_b32 v0, v10 :: v_dual_mov_b32 v1, v11
	scratch_store_b128 off, v[8:11], off offset:1040
	scratch_load_b128 v[8:11], off, off offset:32
	scratch_store_b128 off, v[0:3], off offset:1136
	v_mul_f64 v[0:1], v[172:173], v[172:173]
	v_fma_f64 v[0:1], v[168:169], v[168:169], v[0:1]
	s_delay_alu instid0(VALU_DEP_1) | instskip(SKIP_4) | instid1(VALU_DEP_1)
	v_fma_f64 v[4:5], v[170:171], v[170:171], v[0:1]
	scratch_load_b128 v[0:3], off, off
	s_waitcnt vmcnt(0)
	v_fma_f64 v[0:1], v[100:101], v[4:5], v[0:1]
	v_mul_f64 v[4:5], v[172:173], v[164:165]
	v_fma_f64 v[4:5], v[168:169], v[162:163], v[4:5]
	s_delay_alu instid0(VALU_DEP_1) | instskip(NEXT) | instid1(VALU_DEP_1)
	v_fma_f64 v[4:5], v[170:171], v[166:167], v[4:5]
	v_fma_f64 v[2:3], v[100:101], v[4:5], v[2:3]
	scratch_load_b128 v[4:7], off, off offset:16
	scratch_store_b128 off, v[250:253], off offset:48
	scratch_load_b128 v[12:15], off, off offset:48
	scratch_store_b128 off, v[0:3], off
	v_mul_f64 v[0:1], v[172:173], v[160:161]
	v_dual_mov_b32 v182, v2 :: v_dual_mov_b32 v183, v3
	s_delay_alu instid0(VALU_DEP_2) | instskip(NEXT) | instid1(VALU_DEP_1)
	v_fma_f64 v[0:1], v[168:169], v[156:157], v[0:1]
	v_fma_f64 v[0:1], v[170:171], v[158:159], v[0:1]
	s_waitcnt vmcnt(1)
	s_delay_alu instid0(VALU_DEP_1) | instskip(SKIP_1) | instid1(VALU_DEP_1)
	v_fma_f64 v[4:5], v[100:101], v[0:1], v[4:5]
	v_mul_f64 v[0:1], v[172:173], v[152:153]
	v_fma_f64 v[0:1], v[168:169], v[150:151], v[0:1]
	s_delay_alu instid0(VALU_DEP_1) | instskip(NEXT) | instid1(VALU_DEP_1)
	v_fma_f64 v[0:1], v[170:171], v[154:155], v[0:1]
	v_fma_f64 v[6:7], v[100:101], v[0:1], v[6:7]
	v_mul_f64 v[0:1], v[172:173], v[148:149]
	s_delay_alu instid0(VALU_DEP_1) | instskip(NEXT) | instid1(VALU_DEP_1)
	v_fma_f64 v[0:1], v[168:169], v[144:145], v[0:1]
	v_fma_f64 v[0:1], v[170:171], v[146:147], v[0:1]
	s_delay_alu instid0(VALU_DEP_1) | instskip(SKIP_1) | instid1(VALU_DEP_1)
	v_fma_f64 v[8:9], v[100:101], v[0:1], v[8:9]
	v_mul_f64 v[0:1], v[172:173], v[140:141]
	v_fma_f64 v[0:1], v[168:169], v[138:139], v[0:1]
	s_delay_alu instid0(VALU_DEP_1) | instskip(NEXT) | instid1(VALU_DEP_1)
	v_fma_f64 v[0:1], v[170:171], v[142:143], v[0:1]
	v_fma_f64 v[10:11], v[100:101], v[0:1], v[10:11]
	v_mul_f64 v[0:1], v[172:173], v[136:137]
	s_clause 0x1
	scratch_store_b128 off, v[4:7], off offset:16
	scratch_store_b128 off, v[8:11], off offset:32
	v_fma_f64 v[0:1], v[168:169], v[132:133], v[0:1]
	s_delay_alu instid0(VALU_DEP_1) | instskip(SKIP_1) | instid1(VALU_DEP_1)
	v_fma_f64 v[0:1], v[170:171], v[134:135], v[0:1]
	s_waitcnt vmcnt(0)
	v_fma_f64 v[12:13], v[100:101], v[0:1], v[12:13]
	v_mul_f64 v[0:1], v[172:173], v[128:129]
	s_delay_alu instid0(VALU_DEP_1) | instskip(NEXT) | instid1(VALU_DEP_1)
	v_fma_f64 v[0:1], v[168:169], v[126:127], v[0:1]
	v_fma_f64 v[0:1], v[170:171], v[130:131], v[0:1]
	s_delay_alu instid0(VALU_DEP_1) | instskip(SKIP_1) | instid1(VALU_DEP_1)
	v_fma_f64 v[14:15], v[100:101], v[0:1], v[14:15]
	v_mul_f64 v[0:1], v[172:173], v[124:125]
	v_fma_f64 v[0:1], v[168:169], v[120:121], v[0:1]
	s_delay_alu instid0(VALU_DEP_1) | instskip(NEXT) | instid1(VALU_DEP_1)
	v_fma_f64 v[0:1], v[170:171], v[122:123], v[0:1]
	v_fma_f64 v[174:175], v[100:101], v[0:1], v[174:175]
	v_mul_f64 v[0:1], v[172:173], v[116:117]
	s_delay_alu instid0(VALU_DEP_1) | instskip(NEXT) | instid1(VALU_DEP_1)
	v_fma_f64 v[0:1], v[168:169], v[114:115], v[0:1]
	v_fma_f64 v[0:1], v[170:171], v[118:119], v[0:1]
	s_delay_alu instid0(VALU_DEP_1)
	v_fma_f64 v[176:177], v[100:101], v[0:1], v[176:177]
	v_mul_f64 v[0:1], v[172:173], v[112:113]
	s_clause 0x1
	scratch_store_b128 off, v[12:15], off offset:48
	scratch_store_b128 off, v[174:177], off offset:64
	v_fma_f64 v[0:1], v[168:169], v[104:105], v[0:1]
	s_delay_alu instid0(VALU_DEP_1) | instskip(NEXT) | instid1(VALU_DEP_1)
	v_fma_f64 v[0:1], v[170:171], v[106:107], v[0:1]
	v_fma_f64 v[178:179], v[100:101], v[0:1], v[178:179]
	v_mul_f64 v[0:1], v[172:173], v[108:109]
	s_delay_alu instid0(VALU_DEP_1) | instskip(NEXT) | instid1(VALU_DEP_1)
	v_fma_f64 v[0:1], v[168:169], v[102:103], v[0:1]
	v_fma_f64 v[0:1], v[170:171], v[110:111], v[0:1]
	scratch_load_b128 v[168:171], off, off offset:104
	v_fma_f64 v[180:181], v[100:101], v[0:1], v[180:181]
	v_mul_f64 v[0:1], v[164:165], v[164:165]
	s_delay_alu instid0(VALU_DEP_1) | instskip(NEXT) | instid1(VALU_DEP_1)
	v_fma_f64 v[0:1], v[162:163], v[162:163], v[0:1]
	v_fma_f64 v[0:1], v[166:167], v[166:167], v[0:1]
	s_waitcnt vmcnt(0)
	s_delay_alu instid0(VALU_DEP_1)
	v_fma_f64 v[184:185], v[100:101], v[0:1], v[168:169]
	v_mul_f64 v[0:1], v[164:165], v[160:161]
	s_clause 0x1
	scratch_store_b128 off, v[178:181], off offset:80
	scratch_store_b128 off, v[182:185], off offset:96
	v_fma_f64 v[0:1], v[162:163], v[156:157], v[0:1]
	s_delay_alu instid0(VALU_DEP_1) | instskip(NEXT) | instid1(VALU_DEP_1)
	v_fma_f64 v[0:1], v[166:167], v[158:159], v[0:1]
	v_fma_f64 v[0:1], v[100:101], v[0:1], v[170:171]
	v_mov_b32_e32 v2, v4
	v_dual_mov_b32 v3, v5 :: v_dual_mov_b32 v4, v6
	s_delay_alu instid0(VALU_DEP_3) | instskip(NEXT) | instid1(VALU_DEP_4)
	v_dual_mov_b32 v5, v7 :: v_dual_mov_b32 v4, v0
	v_mov_b32_e32 v5, v1
	s_clause 0x1
	scratch_store_b128 off, v[218:221], off offset:464
	scratch_store_b128 off, v[2:5], off offset:192
	v_mul_f64 v[2:3], v[164:165], v[152:153]
	s_delay_alu instid0(VALU_DEP_1) | instskip(NEXT) | instid1(VALU_DEP_1)
	v_fma_f64 v[2:3], v[162:163], v[150:151], v[2:3]
	v_fma_f64 v[168:169], v[166:167], v[154:155], v[2:3]
	scratch_load_b128 v[2:5], off, off offset:120
	s_waitcnt vmcnt(0)
	v_fma_f64 v[2:3], v[100:101], v[168:169], v[2:3]
	s_clause 0x1
	scratch_store_b128 off, v[226:229], off offset:240
	scratch_store_b128 off, v[0:3], off offset:112
	v_dual_mov_b32 v0, v6 :: v_dual_mov_b32 v1, v7
	s_clause 0x1
	scratch_store_b128 off, v[202:205], off offset:656
	scratch_store_b128 off, v[0:3], off offset:288
	v_mul_f64 v[0:1], v[164:165], v[148:149]
	s_delay_alu instid0(VALU_DEP_1) | instskip(NEXT) | instid1(VALU_DEP_1)
	v_fma_f64 v[0:1], v[162:163], v[144:145], v[0:1]
	v_fma_f64 v[0:1], v[166:167], v[146:147], v[0:1]
	s_delay_alu instid0(VALU_DEP_1) | instskip(SKIP_2) | instid1(VALU_DEP_3)
	v_fma_f64 v[0:1], v[100:101], v[0:1], v[4:5]
	v_dual_mov_b32 v2, v8 :: v_dual_mov_b32 v3, v9
	v_dual_mov_b32 v4, v10 :: v_dual_mov_b32 v5, v11
	v_dual_mov_b32 v4, v0 :: v_dual_mov_b32 v5, v1
	scratch_store_b128 off, v[2:5], off offset:384
	v_mul_f64 v[2:3], v[164:165], v[140:141]
	s_delay_alu instid0(VALU_DEP_1) | instskip(NEXT) | instid1(VALU_DEP_1)
	v_fma_f64 v[2:3], v[162:163], v[138:139], v[2:3]
	v_fma_f64 v[6:7], v[166:167], v[142:143], v[2:3]
	scratch_load_b128 v[2:5], off, off offset:136
	s_waitcnt vmcnt(0)
	v_fma_f64 v[2:3], v[100:101], v[6:7], v[2:3]
	s_clause 0x1
	scratch_store_b128 off, v[230:233], off offset:256
	scratch_store_b128 off, v[0:3], off offset:128
	v_dual_mov_b32 v0, v10 :: v_dual_mov_b32 v1, v11
	scratch_store_b128 off, v[0:3], off offset:480
	v_mul_f64 v[0:1], v[164:165], v[136:137]
	s_delay_alu instid0(VALU_DEP_1) | instskip(NEXT) | instid1(VALU_DEP_1)
	v_fma_f64 v[0:1], v[162:163], v[132:133], v[0:1]
	v_fma_f64 v[0:1], v[166:167], v[134:135], v[0:1]
	s_delay_alu instid0(VALU_DEP_1) | instskip(SKIP_2) | instid1(VALU_DEP_3)
	v_fma_f64 v[0:1], v[100:101], v[0:1], v[4:5]
	v_dual_mov_b32 v2, v12 :: v_dual_mov_b32 v3, v13
	v_dual_mov_b32 v4, v14 :: v_dual_mov_b32 v5, v15
	v_dual_mov_b32 v4, v0 :: v_dual_mov_b32 v5, v1
	scratch_store_b128 off, v[2:5], off offset:576
	v_mul_f64 v[2:3], v[164:165], v[128:129]
	s_delay_alu instid0(VALU_DEP_1) | instskip(NEXT) | instid1(VALU_DEP_1)
	v_fma_f64 v[2:3], v[162:163], v[126:127], v[2:3]
	v_fma_f64 v[6:7], v[166:167], v[130:131], v[2:3]
	scratch_load_b128 v[2:5], off, off offset:152
	s_waitcnt vmcnt(0)
	v_fma_f64 v[2:3], v[100:101], v[6:7], v[2:3]
	s_clause 0x1
	scratch_store_b128 off, v[234:237], off offset:272
	scratch_store_b128 off, v[0:3], off offset:144
	v_dual_mov_b32 v0, v14 :: v_dual_mov_b32 v1, v15
	;; [unrolled: 22-line block ×3, first 2 shown]
	scratch_store_b128 off, v[0:3], off offset:864
	v_mul_f64 v[0:1], v[164:165], v[112:113]
	s_delay_alu instid0(VALU_DEP_1) | instskip(NEXT) | instid1(VALU_DEP_1)
	v_fma_f64 v[0:1], v[162:163], v[104:105], v[0:1]
	v_fma_f64 v[0:1], v[166:167], v[106:107], v[0:1]
	s_delay_alu instid0(VALU_DEP_1) | instskip(SKIP_2) | instid1(VALU_DEP_3)
	v_fma_f64 v[0:1], v[100:101], v[0:1], v[4:5]
	v_dual_mov_b32 v2, v178 :: v_dual_mov_b32 v3, v179
	v_dual_mov_b32 v4, v180 :: v_dual_mov_b32 v5, v181
	;; [unrolled: 1-line block ×3, first 2 shown]
	scratch_store_b128 off, v[2:5], off offset:960
	scratch_load_b64 v[4:5], off, off offset:184
	v_mul_f64 v[2:3], v[164:165], v[108:109]
	s_delay_alu instid0(VALU_DEP_1) | instskip(SKIP_3) | instid1(VALU_DEP_1)
	v_fma_f64 v[2:3], v[162:163], v[102:103], v[2:3]
	scratch_load_b128 v[162:165], off, off offset:272
	v_fma_f64 v[2:3], v[166:167], v[110:111], v[2:3]
	s_waitcnt vmcnt(1)
	v_fma_f64 v[2:3], v[100:101], v[2:3], v[4:5]
	s_clause 0x1
	scratch_store_b128 off, v[214:217], off offset:448
	scratch_store_b128 off, v[0:3], off offset:176
	v_dual_mov_b32 v0, v180 :: v_dual_mov_b32 v1, v181
	scratch_store_b128 off, v[0:3], off offset:1056
	scratch_load_b128 v[2:5], off, off offset:208
	v_mul_f64 v[0:1], v[160:161], v[160:161]
	s_delay_alu instid0(VALU_DEP_1) | instskip(NEXT) | instid1(VALU_DEP_1)
	v_fma_f64 v[0:1], v[156:157], v[156:157], v[0:1]
	v_fma_f64 v[0:1], v[158:159], v[158:159], v[0:1]
	s_waitcnt vmcnt(0)
	s_delay_alu instid0(VALU_DEP_1) | instskip(SKIP_1) | instid1(VALU_DEP_1)
	v_fma_f64 v[2:3], v[100:101], v[0:1], v[2:3]
	v_mul_f64 v[0:1], v[160:161], v[152:153]
	v_fma_f64 v[0:1], v[156:157], v[150:151], v[0:1]
	s_delay_alu instid0(VALU_DEP_1) | instskip(NEXT) | instid1(VALU_DEP_1)
	v_fma_f64 v[0:1], v[158:159], v[154:155], v[0:1]
	v_fma_f64 v[4:5], v[100:101], v[0:1], v[4:5]
	v_mul_f64 v[0:1], v[160:161], v[148:149]
	s_clause 0x1
	scratch_store_b128 off, v[222:225], off offset:512
	scratch_store_b128 off, v[2:5], off offset:208
	v_fma_f64 v[0:1], v[156:157], v[144:145], v[0:1]
	v_dual_mov_b32 v166, v4 :: v_dual_mov_b32 v167, v5
	v_mul_f64 v[4:5], v[152:153], v[148:149]
	s_delay_alu instid0(VALU_DEP_3) | instskip(SKIP_2) | instid1(VALU_DEP_1)
	v_fma_f64 v[6:7], v[158:159], v[146:147], v[0:1]
	scratch_load_b128 v[0:3], off, off offset:224
	v_fma_f64 v[4:5], v[150:151], v[144:145], v[4:5]
	v_fma_f64 v[4:5], v[154:155], v[146:147], v[4:5]
	s_waitcnt vmcnt(0)
	v_fma_f64 v[0:1], v[100:101], v[6:7], v[0:1]
	v_mul_f64 v[6:7], v[160:161], v[140:141]
	s_delay_alu instid0(VALU_DEP_1) | instskip(NEXT) | instid1(VALU_DEP_1)
	v_fma_f64 v[6:7], v[156:157], v[138:139], v[6:7]
	v_fma_f64 v[6:7], v[158:159], v[142:143], v[6:7]
	s_delay_alu instid0(VALU_DEP_1) | instskip(SKIP_1) | instid1(VALU_DEP_1)
	v_fma_f64 v[2:3], v[100:101], v[6:7], v[2:3]
	v_mul_f64 v[6:7], v[160:161], v[136:137]
	v_fma_f64 v[6:7], v[156:157], v[132:133], v[6:7]
	s_delay_alu instid0(VALU_DEP_1) | instskip(SKIP_4) | instid1(VALU_DEP_1)
	v_fma_f64 v[10:11], v[158:159], v[134:135], v[6:7]
	scratch_load_b128 v[6:9], off, off offset:240
	s_waitcnt vmcnt(0)
	v_fma_f64 v[6:7], v[100:101], v[10:11], v[6:7]
	v_mul_f64 v[10:11], v[160:161], v[128:129]
	v_fma_f64 v[10:11], v[156:157], v[126:127], v[10:11]
	s_delay_alu instid0(VALU_DEP_1) | instskip(NEXT) | instid1(VALU_DEP_1)
	v_fma_f64 v[10:11], v[158:159], v[130:131], v[10:11]
	v_fma_f64 v[8:9], v[100:101], v[10:11], v[8:9]
	v_mul_f64 v[10:11], v[160:161], v[124:125]
	s_clause 0x1
	scratch_store_b128 off, v[0:3], off offset:224
	scratch_store_b128 off, v[6:9], off offset:240
	v_fma_f64 v[10:11], v[156:157], v[120:121], v[10:11]
	s_delay_alu instid0(VALU_DEP_1) | instskip(SKIP_4) | instid1(VALU_DEP_1)
	v_fma_f64 v[14:15], v[158:159], v[122:123], v[10:11]
	scratch_load_b128 v[10:13], off, off offset:256
	s_waitcnt vmcnt(0)
	v_fma_f64 v[10:11], v[100:101], v[14:15], v[10:11]
	v_mul_f64 v[14:15], v[160:161], v[116:117]
	v_fma_f64 v[14:15], v[156:157], v[114:115], v[14:15]
	s_delay_alu instid0(VALU_DEP_1) | instskip(NEXT) | instid1(VALU_DEP_1)
	v_fma_f64 v[14:15], v[158:159], v[118:119], v[14:15]
	v_fma_f64 v[12:13], v[100:101], v[14:15], v[12:13]
	v_mul_f64 v[14:15], v[160:161], v[112:113]
	s_delay_alu instid0(VALU_DEP_1) | instskip(NEXT) | instid1(VALU_DEP_1)
	v_fma_f64 v[14:15], v[156:157], v[104:105], v[14:15]
	v_fma_f64 v[14:15], v[158:159], v[106:107], v[14:15]
	s_delay_alu instid0(VALU_DEP_1) | instskip(SKIP_1) | instid1(VALU_DEP_1)
	v_fma_f64 v[162:163], v[100:101], v[14:15], v[162:163]
	v_mul_f64 v[14:15], v[160:161], v[108:109]
	v_fma_f64 v[14:15], v[156:157], v[102:103], v[14:15]
	s_delay_alu instid0(VALU_DEP_1)
	v_fma_f64 v[14:15], v[158:159], v[110:111], v[14:15]
	scratch_load_b128 v[156:159], off, off offset:312
	v_fma_f64 v[164:165], v[100:101], v[14:15], v[164:165]
	v_mul_f64 v[14:15], v[152:153], v[152:153]
	s_clause 0x1
	scratch_store_b128 off, v[10:13], off offset:256
	scratch_store_b128 off, v[162:165], off offset:272
	v_fma_f64 v[14:15], v[150:151], v[150:151], v[14:15]
	s_delay_alu instid0(VALU_DEP_1) | instskip(SKIP_1) | instid1(VALU_DEP_1)
	v_fma_f64 v[14:15], v[154:155], v[154:155], v[14:15]
	s_waitcnt vmcnt(0)
	v_fma_f64 v[168:169], v[100:101], v[14:15], v[156:157]
	v_fma_f64 v[156:157], v[100:101], v[4:5], v[158:159]
	v_dual_mov_b32 v161, v3 :: v_dual_mov_b32 v160, v2
	v_dual_mov_b32 v159, v1 :: v_dual_mov_b32 v158, v0
	v_mul_f64 v[0:1], v[152:153], v[140:141]
	s_delay_alu instid0(VALU_DEP_4) | instskip(NEXT) | instid1(VALU_DEP_2)
	v_dual_mov_b32 v160, v156 :: v_dual_mov_b32 v161, v157
	v_fma_f64 v[0:1], v[150:151], v[138:139], v[0:1]
	scratch_store_b128 off, v[158:161], off offset:400
	scratch_load_b128 v[158:161], off, off offset:328
	v_fma_f64 v[0:1], v[154:155], v[142:143], v[0:1]
	s_waitcnt vmcnt(0)
	s_delay_alu instid0(VALU_DEP_1)
	v_fma_f64 v[158:159], v[100:101], v[0:1], v[158:159]
	v_mul_f64 v[0:1], v[152:153], v[136:137]
	s_clause 0x1
	scratch_store_b128 off, v[166:169], off offset:304
	scratch_store_b128 off, v[156:159], off offset:320
	v_fma_f64 v[0:1], v[150:151], v[132:133], v[0:1]
	v_dual_mov_b32 v156, v2 :: v_dual_mov_b32 v157, v3
	v_dual_mov_b32 v2, v6 :: v_dual_mov_b32 v3, v7
	;; [unrolled: 1-line block ×3, first 2 shown]
	s_delay_alu instid0(VALU_DEP_4) | instskip(NEXT) | instid1(VALU_DEP_1)
	v_fma_f64 v[0:1], v[154:155], v[134:135], v[0:1]
	v_fma_f64 v[0:1], v[100:101], v[0:1], v[160:161]
	s_delay_alu instid0(VALU_DEP_1) | instskip(SKIP_2) | instid1(VALU_DEP_1)
	v_dual_mov_b32 v4, v0 :: v_dual_mov_b32 v5, v1
	scratch_store_b128 off, v[2:5], off offset:592
	v_mul_f64 v[2:3], v[152:153], v[128:129]
	v_fma_f64 v[2:3], v[150:151], v[126:127], v[2:3]
	s_delay_alu instid0(VALU_DEP_1)
	v_fma_f64 v[6:7], v[154:155], v[130:131], v[2:3]
	scratch_load_b128 v[2:5], off, off offset:344
	s_waitcnt vmcnt(0)
	v_fma_f64 v[2:3], v[100:101], v[6:7], v[2:3]
	s_clause 0x1
	scratch_store_b128 off, v[156:159], off offset:496
	scratch_store_b128 off, v[0:3], off offset:336
	v_dual_mov_b32 v0, v8 :: v_dual_mov_b32 v1, v9
	scratch_store_b128 off, v[0:3], off offset:688
	v_mul_f64 v[0:1], v[152:153], v[124:125]
	s_delay_alu instid0(VALU_DEP_1) | instskip(NEXT) | instid1(VALU_DEP_1)
	v_fma_f64 v[0:1], v[150:151], v[120:121], v[0:1]
	v_fma_f64 v[0:1], v[154:155], v[122:123], v[0:1]
	s_delay_alu instid0(VALU_DEP_1)
	v_fma_f64 v[0:1], v[100:101], v[0:1], v[4:5]
	v_dual_mov_b32 v2, v10 :: v_dual_mov_b32 v3, v11
	v_dual_mov_b32 v4, v12 :: v_dual_mov_b32 v5, v13
	scratch_load_b128 v[8:11], off, off offset:448
	v_dual_mov_b32 v4, v0 :: v_dual_mov_b32 v5, v1
	scratch_store_b128 off, v[2:5], off offset:784
	v_mul_f64 v[2:3], v[152:153], v[116:117]
	s_delay_alu instid0(VALU_DEP_1) | instskip(NEXT) | instid1(VALU_DEP_1)
	v_fma_f64 v[2:3], v[150:151], v[114:115], v[2:3]
	v_fma_f64 v[6:7], v[154:155], v[118:119], v[2:3]
	scratch_load_b128 v[2:5], off, off offset:360
	s_waitcnt vmcnt(0)
	v_fma_f64 v[2:3], v[100:101], v[6:7], v[2:3]
	s_clause 0x1
	scratch_store_b128 off, v[206:209], off offset:720
	scratch_store_b128 off, v[0:3], off offset:352
	v_dual_mov_b32 v0, v12 :: v_dual_mov_b32 v1, v13
	scratch_load_b128 v[12:15], off, off offset:464
	scratch_store_b128 off, v[0:3], off offset:880
	v_mul_f64 v[0:1], v[152:153], v[112:113]
	s_delay_alu instid0(VALU_DEP_1) | instskip(NEXT) | instid1(VALU_DEP_1)
	v_fma_f64 v[0:1], v[150:151], v[104:105], v[0:1]
	v_fma_f64 v[0:1], v[154:155], v[106:107], v[0:1]
	s_delay_alu instid0(VALU_DEP_1) | instskip(SKIP_2) | instid1(VALU_DEP_3)
	v_fma_f64 v[0:1], v[100:101], v[0:1], v[4:5]
	v_dual_mov_b32 v2, v162 :: v_dual_mov_b32 v3, v163
	v_dual_mov_b32 v4, v164 :: v_dual_mov_b32 v5, v165
	;; [unrolled: 1-line block ×3, first 2 shown]
	scratch_store_b128 off, v[2:5], off offset:976
	scratch_load_b64 v[4:5], off, off offset:376
	v_mul_f64 v[2:3], v[152:153], v[108:109]
	s_delay_alu instid0(VALU_DEP_1) | instskip(NEXT) | instid1(VALU_DEP_1)
	v_fma_f64 v[2:3], v[150:151], v[102:103], v[2:3]
	v_fma_f64 v[2:3], v[154:155], v[110:111], v[2:3]
	s_waitcnt vmcnt(0)
	s_delay_alu instid0(VALU_DEP_1)
	v_fma_f64 v[2:3], v[100:101], v[2:3], v[4:5]
	s_clause 0x1
	scratch_store_b128 off, v[188:191], off offset:928
	scratch_store_b128 off, v[0:3], off offset:368
	v_dual_mov_b32 v0, v164 :: v_dual_mov_b32 v1, v165
	scratch_store_b128 off, v[0:3], off offset:1072
	v_mul_f64 v[0:1], v[148:149], v[148:149]
	s_delay_alu instid0(VALU_DEP_1) | instskip(NEXT) | instid1(VALU_DEP_1)
	v_fma_f64 v[0:1], v[144:145], v[144:145], v[0:1]
	v_fma_f64 v[4:5], v[146:147], v[146:147], v[0:1]
	scratch_load_b128 v[0:3], off, off offset:416
	s_waitcnt vmcnt(0)
	v_fma_f64 v[0:1], v[100:101], v[4:5], v[0:1]
	v_mul_f64 v[4:5], v[148:149], v[140:141]
	s_delay_alu instid0(VALU_DEP_1) | instskip(NEXT) | instid1(VALU_DEP_1)
	v_fma_f64 v[4:5], v[144:145], v[138:139], v[4:5]
	v_fma_f64 v[4:5], v[146:147], v[142:143], v[4:5]
	s_delay_alu instid0(VALU_DEP_1) | instskip(SKIP_3) | instid1(VALU_DEP_1)
	v_fma_f64 v[2:3], v[100:101], v[4:5], v[2:3]
	scratch_load_b128 v[4:7], off, off offset:432
	scratch_store_b128 off, v[0:3], off offset:416
	v_mul_f64 v[0:1], v[148:149], v[136:137]
	v_fma_f64 v[0:1], v[144:145], v[132:133], v[0:1]
	s_delay_alu instid0(VALU_DEP_1) | instskip(SKIP_1) | instid1(VALU_DEP_1)
	v_fma_f64 v[0:1], v[146:147], v[134:135], v[0:1]
	s_waitcnt vmcnt(0)
	v_fma_f64 v[4:5], v[100:101], v[0:1], v[4:5]
	v_mul_f64 v[0:1], v[148:149], v[128:129]
	s_delay_alu instid0(VALU_DEP_1) | instskip(NEXT) | instid1(VALU_DEP_1)
	v_fma_f64 v[0:1], v[144:145], v[126:127], v[0:1]
	v_fma_f64 v[0:1], v[146:147], v[130:131], v[0:1]
	s_delay_alu instid0(VALU_DEP_1) | instskip(SKIP_1) | instid1(VALU_DEP_1)
	v_fma_f64 v[6:7], v[100:101], v[0:1], v[6:7]
	v_mul_f64 v[0:1], v[148:149], v[124:125]
	v_fma_f64 v[0:1], v[144:145], v[120:121], v[0:1]
	s_delay_alu instid0(VALU_DEP_1) | instskip(NEXT) | instid1(VALU_DEP_1)
	v_fma_f64 v[0:1], v[146:147], v[122:123], v[0:1]
	v_fma_f64 v[8:9], v[100:101], v[0:1], v[8:9]
	v_mul_f64 v[0:1], v[148:149], v[116:117]
	s_delay_alu instid0(VALU_DEP_1) | instskip(NEXT) | instid1(VALU_DEP_1)
	v_fma_f64 v[0:1], v[144:145], v[114:115], v[0:1]
	v_fma_f64 v[0:1], v[146:147], v[118:119], v[0:1]
	s_delay_alu instid0(VALU_DEP_1)
	v_fma_f64 v[10:11], v[100:101], v[0:1], v[10:11]
	v_mul_f64 v[0:1], v[148:149], v[112:113]
	s_clause 0x1
	scratch_store_b128 off, v[4:7], off offset:432
	scratch_store_b128 off, v[8:11], off offset:448
	v_fma_f64 v[0:1], v[144:145], v[104:105], v[0:1]
	s_delay_alu instid0(VALU_DEP_1) | instskip(NEXT) | instid1(VALU_DEP_1)
	v_fma_f64 v[0:1], v[146:147], v[106:107], v[0:1]
	v_fma_f64 v[12:13], v[100:101], v[0:1], v[12:13]
	v_mul_f64 v[0:1], v[148:149], v[108:109]
	v_dual_mov_b32 v148, v2 :: v_dual_mov_b32 v149, v3
	s_delay_alu instid0(VALU_DEP_2) | instskip(NEXT) | instid1(VALU_DEP_1)
	v_fma_f64 v[0:1], v[144:145], v[102:103], v[0:1]
	v_fma_f64 v[0:1], v[146:147], v[110:111], v[0:1]
	scratch_load_b128 v[144:147], off, off offset:520
	v_fma_f64 v[14:15], v[100:101], v[0:1], v[14:15]
	v_mul_f64 v[0:1], v[140:141], v[140:141]
	s_delay_alu instid0(VALU_DEP_1) | instskip(NEXT) | instid1(VALU_DEP_1)
	v_fma_f64 v[0:1], v[138:139], v[138:139], v[0:1]
	v_fma_f64 v[0:1], v[142:143], v[142:143], v[0:1]
	s_waitcnt vmcnt(0)
	s_delay_alu instid0(VALU_DEP_1)
	v_fma_f64 v[150:151], v[100:101], v[0:1], v[144:145]
	v_mul_f64 v[0:1], v[140:141], v[136:137]
	s_clause 0x1
	scratch_store_b128 off, v[12:15], off offset:464
	scratch_store_b128 off, v[148:151], off offset:512
	v_fma_f64 v[0:1], v[138:139], v[132:133], v[0:1]
	s_delay_alu instid0(VALU_DEP_1) | instskip(NEXT) | instid1(VALU_DEP_1)
	v_fma_f64 v[0:1], v[142:143], v[134:135], v[0:1]
	v_fma_f64 v[0:1], v[100:101], v[0:1], v[146:147]
	v_mov_b32_e32 v2, v4
	v_dual_mov_b32 v3, v5 :: v_dual_mov_b32 v4, v6
	s_delay_alu instid0(VALU_DEP_3) | instskip(NEXT) | instid1(VALU_DEP_4)
	v_dual_mov_b32 v5, v7 :: v_dual_mov_b32 v4, v0
	v_mov_b32_e32 v5, v1
	scratch_store_b128 off, v[2:5], off offset:608
	v_mul_f64 v[2:3], v[140:141], v[128:129]
	s_delay_alu instid0(VALU_DEP_1) | instskip(NEXT) | instid1(VALU_DEP_1)
	v_fma_f64 v[2:3], v[138:139], v[126:127], v[2:3]
	v_fma_f64 v[144:145], v[142:143], v[130:131], v[2:3]
	scratch_load_b128 v[2:5], off, off offset:536
	s_waitcnt vmcnt(0)
	v_fma_f64 v[2:3], v[100:101], v[144:145], v[2:3]
	scratch_store_b128 off, v[0:3], off offset:528
	v_dual_mov_b32 v0, v6 :: v_dual_mov_b32 v1, v7
	scratch_store_b128 off, v[0:3], off offset:704
	v_mul_f64 v[0:1], v[140:141], v[124:125]
	s_delay_alu instid0(VALU_DEP_1) | instskip(NEXT) | instid1(VALU_DEP_1)
	v_fma_f64 v[0:1], v[138:139], v[120:121], v[0:1]
	v_fma_f64 v[0:1], v[142:143], v[122:123], v[0:1]
	s_delay_alu instid0(VALU_DEP_1) | instskip(SKIP_2) | instid1(VALU_DEP_3)
	v_fma_f64 v[0:1], v[100:101], v[0:1], v[4:5]
	v_dual_mov_b32 v2, v8 :: v_dual_mov_b32 v3, v9
	v_dual_mov_b32 v4, v10 :: v_dual_mov_b32 v5, v11
	;; [unrolled: 1-line block ×3, first 2 shown]
	scratch_store_b128 off, v[2:5], off offset:800
	v_mul_f64 v[2:3], v[140:141], v[116:117]
	s_delay_alu instid0(VALU_DEP_1) | instskip(NEXT) | instid1(VALU_DEP_1)
	v_fma_f64 v[2:3], v[138:139], v[114:115], v[2:3]
	v_fma_f64 v[6:7], v[142:143], v[118:119], v[2:3]
	scratch_load_b128 v[2:5], off, off offset:552
	s_waitcnt vmcnt(0)
	v_fma_f64 v[2:3], v[100:101], v[6:7], v[2:3]
	scratch_store_b128 off, v[0:3], off offset:544
	v_dual_mov_b32 v0, v10 :: v_dual_mov_b32 v1, v11
	scratch_load_b128 v[8:11], off, off offset:656
	scratch_store_b128 off, v[0:3], off offset:896
	v_mul_f64 v[0:1], v[140:141], v[112:113]
	s_delay_alu instid0(VALU_DEP_1) | instskip(NEXT) | instid1(VALU_DEP_1)
	v_fma_f64 v[0:1], v[138:139], v[104:105], v[0:1]
	v_fma_f64 v[0:1], v[142:143], v[106:107], v[0:1]
	s_delay_alu instid0(VALU_DEP_1) | instskip(SKIP_2) | instid1(VALU_DEP_3)
	v_fma_f64 v[0:1], v[100:101], v[0:1], v[4:5]
	v_dual_mov_b32 v2, v12 :: v_dual_mov_b32 v3, v13
	v_dual_mov_b32 v4, v14 :: v_dual_mov_b32 v5, v15
	;; [unrolled: 1-line block ×3, first 2 shown]
	scratch_store_b128 off, v[2:5], off offset:992
	scratch_load_b64 v[4:5], off, off offset:568
	v_mul_f64 v[2:3], v[140:141], v[108:109]
	s_delay_alu instid0(VALU_DEP_1) | instskip(NEXT) | instid1(VALU_DEP_1)
	v_fma_f64 v[2:3], v[138:139], v[102:103], v[2:3]
	v_fma_f64 v[2:3], v[142:143], v[110:111], v[2:3]
	s_waitcnt vmcnt(0)
	s_delay_alu instid0(VALU_DEP_1)
	v_fma_f64 v[2:3], v[100:101], v[2:3], v[4:5]
	scratch_store_b128 off, v[0:3], off offset:560
	v_dual_mov_b32 v0, v14 :: v_dual_mov_b32 v1, v15
	scratch_load_b128 v[12:15], off, off offset:728
	scratch_store_b128 off, v[0:3], off offset:1088
	v_mul_f64 v[0:1], v[136:137], v[136:137]
	s_delay_alu instid0(VALU_DEP_1) | instskip(NEXT) | instid1(VALU_DEP_1)
	v_fma_f64 v[0:1], v[132:133], v[132:133], v[0:1]
	v_fma_f64 v[4:5], v[134:135], v[134:135], v[0:1]
	scratch_load_b128 v[0:3], off, off offset:624
	s_waitcnt vmcnt(0)
	v_fma_f64 v[0:1], v[100:101], v[4:5], v[0:1]
	v_mul_f64 v[4:5], v[136:137], v[128:129]
	s_delay_alu instid0(VALU_DEP_1) | instskip(NEXT) | instid1(VALU_DEP_1)
	v_fma_f64 v[4:5], v[132:133], v[126:127], v[4:5]
	v_fma_f64 v[4:5], v[134:135], v[130:131], v[4:5]
	s_delay_alu instid0(VALU_DEP_1) | instskip(SKIP_3) | instid1(VALU_DEP_1)
	v_fma_f64 v[2:3], v[100:101], v[4:5], v[2:3]
	scratch_load_b128 v[4:7], off, off offset:640
	scratch_store_b128 off, v[0:3], off offset:624
	v_mul_f64 v[0:1], v[136:137], v[124:125]
	v_fma_f64 v[0:1], v[132:133], v[120:121], v[0:1]
	s_delay_alu instid0(VALU_DEP_1) | instskip(SKIP_1) | instid1(VALU_DEP_1)
	v_fma_f64 v[0:1], v[134:135], v[122:123], v[0:1]
	s_waitcnt vmcnt(0)
	v_fma_f64 v[4:5], v[100:101], v[0:1], v[4:5]
	v_mul_f64 v[0:1], v[136:137], v[116:117]
	s_delay_alu instid0(VALU_DEP_1) | instskip(NEXT) | instid1(VALU_DEP_1)
	v_fma_f64 v[0:1], v[132:133], v[114:115], v[0:1]
	v_fma_f64 v[0:1], v[134:135], v[118:119], v[0:1]
	s_delay_alu instid0(VALU_DEP_1) | instskip(SKIP_1) | instid1(VALU_DEP_1)
	v_fma_f64 v[6:7], v[100:101], v[0:1], v[6:7]
	v_mul_f64 v[0:1], v[136:137], v[112:113]
	v_fma_f64 v[0:1], v[132:133], v[104:105], v[0:1]
	s_delay_alu instid0(VALU_DEP_1) | instskip(NEXT) | instid1(VALU_DEP_1)
	v_fma_f64 v[0:1], v[134:135], v[106:107], v[0:1]
	v_fma_f64 v[8:9], v[100:101], v[0:1], v[8:9]
	v_mul_f64 v[0:1], v[136:137], v[108:109]
	s_delay_alu instid0(VALU_DEP_1) | instskip(SKIP_1) | instid1(VALU_DEP_2)
	v_fma_f64 v[0:1], v[132:133], v[102:103], v[0:1]
	v_dual_mov_b32 v132, v2 :: v_dual_mov_b32 v133, v3
	v_fma_f64 v[0:1], v[134:135], v[110:111], v[0:1]
	s_delay_alu instid0(VALU_DEP_1)
	v_fma_f64 v[10:11], v[100:101], v[0:1], v[10:11]
	v_mul_f64 v[0:1], v[128:129], v[128:129]
	s_clause 0x1
	scratch_store_b128 off, v[4:7], off offset:640
	scratch_store_b128 off, v[8:11], off offset:656
	v_fma_f64 v[0:1], v[126:127], v[126:127], v[0:1]
	s_delay_alu instid0(VALU_DEP_1) | instskip(NEXT) | instid1(VALU_DEP_1)
	v_fma_f64 v[0:1], v[130:131], v[130:131], v[0:1]
	v_fma_f64 v[134:135], v[100:101], v[0:1], v[12:13]
	v_mul_f64 v[0:1], v[128:129], v[124:125]
	s_delay_alu instid0(VALU_DEP_1) | instskip(NEXT) | instid1(VALU_DEP_1)
	v_fma_f64 v[0:1], v[126:127], v[120:121], v[0:1]
	v_fma_f64 v[0:1], v[130:131], v[122:123], v[0:1]
	s_delay_alu instid0(VALU_DEP_1) | instskip(SKIP_2) | instid1(VALU_DEP_3)
	v_fma_f64 v[0:1], v[100:101], v[0:1], v[14:15]
	v_mov_b32_e32 v2, v4
	v_dual_mov_b32 v3, v5 :: v_dual_mov_b32 v4, v6
	v_dual_mov_b32 v5, v7 :: v_dual_mov_b32 v4, v0
	s_delay_alu instid0(VALU_DEP_4) | instskip(SKIP_2) | instid1(VALU_DEP_1)
	v_mov_b32_e32 v5, v1
	scratch_store_b128 off, v[2:5], off offset:816
	v_mul_f64 v[2:3], v[128:129], v[116:117]
	v_fma_f64 v[2:3], v[126:127], v[114:115], v[2:3]
	s_delay_alu instid0(VALU_DEP_1)
	v_fma_f64 v[12:13], v[130:131], v[118:119], v[2:3]
	scratch_load_b128 v[2:5], off, off offset:744
	s_waitcnt vmcnt(0)
	v_fma_f64 v[2:3], v[100:101], v[12:13], v[2:3]
	s_clause 0x1
	scratch_store_b128 off, v[132:135], off offset:720
	scratch_store_b128 off, v[0:3], off offset:736
	v_dual_mov_b32 v0, v6 :: v_dual_mov_b32 v1, v7
	scratch_store_b128 off, v[0:3], off offset:912
	v_mul_f64 v[0:1], v[128:129], v[112:113]
	s_delay_alu instid0(VALU_DEP_1) | instskip(NEXT) | instid1(VALU_DEP_1)
	v_fma_f64 v[0:1], v[126:127], v[104:105], v[0:1]
	v_fma_f64 v[0:1], v[130:131], v[106:107], v[0:1]
	s_delay_alu instid0(VALU_DEP_1) | instskip(SKIP_2) | instid1(VALU_DEP_3)
	v_fma_f64 v[0:1], v[100:101], v[0:1], v[4:5]
	v_dual_mov_b32 v2, v8 :: v_dual_mov_b32 v3, v9
	v_dual_mov_b32 v4, v10 :: v_dual_mov_b32 v5, v11
	;; [unrolled: 1-line block ×3, first 2 shown]
	scratch_store_b128 off, v[2:5], off offset:1008
	scratch_load_b64 v[4:5], off, off offset:760
	v_mul_f64 v[2:3], v[128:129], v[108:109]
	s_delay_alu instid0(VALU_DEP_1) | instskip(NEXT) | instid1(VALU_DEP_1)
	v_fma_f64 v[2:3], v[126:127], v[102:103], v[2:3]
	v_fma_f64 v[2:3], v[130:131], v[110:111], v[2:3]
	s_waitcnt vmcnt(0)
	s_delay_alu instid0(VALU_DEP_1)
	v_fma_f64 v[2:3], v[100:101], v[2:3], v[4:5]
	scratch_store_b128 off, v[0:3], off offset:752
	v_dual_mov_b32 v0, v10 :: v_dual_mov_b32 v1, v11
	scratch_load_b128 v[8:11], off, off offset:936
	scratch_store_b128 off, v[0:3], off offset:1104
	v_mul_f64 v[0:1], v[124:125], v[124:125]
	s_delay_alu instid0(VALU_DEP_1) | instskip(NEXT) | instid1(VALU_DEP_1)
	v_fma_f64 v[0:1], v[120:121], v[120:121], v[0:1]
	v_fma_f64 v[4:5], v[122:123], v[122:123], v[0:1]
	scratch_load_b128 v[0:3], off, off offset:832
	s_waitcnt vmcnt(0)
	v_fma_f64 v[0:1], v[100:101], v[4:5], v[0:1]
	v_mul_f64 v[4:5], v[124:125], v[116:117]
	s_delay_alu instid0(VALU_DEP_1) | instskip(NEXT) | instid1(VALU_DEP_1)
	v_fma_f64 v[4:5], v[120:121], v[114:115], v[4:5]
	v_fma_f64 v[4:5], v[122:123], v[118:119], v[4:5]
	s_delay_alu instid0(VALU_DEP_1) | instskip(SKIP_4) | instid1(VALU_DEP_2)
	v_fma_f64 v[2:3], v[100:101], v[4:5], v[2:3]
	scratch_load_b128 v[4:7], off, off offset:848
	scratch_store_b128 off, v[0:3], off offset:832
	v_mul_f64 v[0:1], v[124:125], v[112:113]
	v_dual_mov_b32 v12, v2 :: v_dual_mov_b32 v13, v3
	v_fma_f64 v[0:1], v[120:121], v[104:105], v[0:1]
	s_delay_alu instid0(VALU_DEP_1) | instskip(SKIP_1) | instid1(VALU_DEP_1)
	v_fma_f64 v[0:1], v[122:123], v[106:107], v[0:1]
	s_waitcnt vmcnt(0)
	v_fma_f64 v[4:5], v[100:101], v[0:1], v[4:5]
	v_mul_f64 v[0:1], v[124:125], v[108:109]
	s_delay_alu instid0(VALU_DEP_1) | instskip(NEXT) | instid1(VALU_DEP_1)
	v_fma_f64 v[0:1], v[120:121], v[102:103], v[0:1]
	v_fma_f64 v[0:1], v[122:123], v[110:111], v[0:1]
	s_delay_alu instid0(VALU_DEP_1) | instskip(SKIP_1) | instid1(VALU_DEP_1)
	v_fma_f64 v[6:7], v[100:101], v[0:1], v[6:7]
	v_mul_f64 v[0:1], v[116:117], v[116:117]
	v_fma_f64 v[0:1], v[114:115], v[114:115], v[0:1]
	s_delay_alu instid0(VALU_DEP_1) | instskip(NEXT) | instid1(VALU_DEP_1)
	v_fma_f64 v[0:1], v[118:119], v[118:119], v[0:1]
	v_fma_f64 v[14:15], v[100:101], v[0:1], v[8:9]
	v_mul_f64 v[0:1], v[116:117], v[112:113]
	s_clause 0x1
	scratch_store_b128 off, v[4:7], off offset:848
	scratch_store_b128 off, v[12:15], off offset:928
	v_fma_f64 v[0:1], v[114:115], v[104:105], v[0:1]
	s_delay_alu instid0(VALU_DEP_1) | instskip(NEXT) | instid1(VALU_DEP_1)
	v_fma_f64 v[0:1], v[118:119], v[106:107], v[0:1]
	v_fma_f64 v[0:1], v[100:101], v[0:1], v[10:11]
	v_mov_b32_e32 v2, v4
	v_dual_mov_b32 v3, v5 :: v_dual_mov_b32 v4, v6
	s_delay_alu instid0(VALU_DEP_3) | instskip(NEXT) | instid1(VALU_DEP_4)
	v_dual_mov_b32 v5, v7 :: v_dual_mov_b32 v4, v0
	v_mov_b32_e32 v5, v1
	scratch_store_b128 off, v[2:5], off offset:1024
	scratch_load_b64 v[4:5], off, off offset:952
	v_mul_f64 v[2:3], v[116:117], v[108:109]
	s_delay_alu instid0(VALU_DEP_1) | instskip(NEXT) | instid1(VALU_DEP_1)
	v_fma_f64 v[2:3], v[114:115], v[102:103], v[2:3]
	v_fma_f64 v[2:3], v[118:119], v[110:111], v[2:3]
	s_waitcnt vmcnt(0)
	s_delay_alu instid0(VALU_DEP_1) | instskip(SKIP_4) | instid1(VALU_DEP_1)
	v_fma_f64 v[2:3], v[100:101], v[2:3], v[4:5]
	scratch_store_b128 off, v[0:3], off offset:944
	v_dual_mov_b32 v0, v6 :: v_dual_mov_b32 v1, v7
	scratch_store_b128 off, v[0:3], off offset:1120
	v_mul_f64 v[0:1], v[112:113], v[112:113]
	v_fma_f64 v[0:1], v[104:105], v[104:105], v[0:1]
	s_delay_alu instid0(VALU_DEP_1) | instskip(SKIP_4) | instid1(VALU_DEP_1)
	v_fma_f64 v[4:5], v[106:107], v[106:107], v[0:1]
	scratch_load_b128 v[0:3], off, off offset:1040
	s_waitcnt vmcnt(0)
	v_fma_f64 v[0:1], v[100:101], v[4:5], v[0:1]
	v_mul_f64 v[4:5], v[112:113], v[108:109]
	v_fma_f64 v[4:5], v[104:105], v[102:103], v[4:5]
	s_delay_alu instid0(VALU_DEP_1) | instskip(NEXT) | instid1(VALU_DEP_1)
	v_fma_f64 v[4:5], v[106:107], v[110:111], v[4:5]
	v_fma_f64 v[2:3], v[100:101], v[4:5], v[2:3]
	scratch_load_b64 v[4:5], off, off offset:1144
	scratch_store_b128 off, v[0:3], off offset:1040
	v_mul_f64 v[0:1], v[108:109], v[108:109]
	s_delay_alu instid0(VALU_DEP_1) | instskip(NEXT) | instid1(VALU_DEP_1)
	v_fma_f64 v[0:1], v[102:103], v[102:103], v[0:1]
	v_fma_f64 v[0:1], v[110:111], v[110:111], v[0:1]
	s_waitcnt vmcnt(0)
	s_delay_alu instid0(VALU_DEP_1)
	v_fma_f64 v[4:5], v[100:101], v[0:1], v[4:5]
	scratch_store_b128 off, v[2:5], off offset:1136
	s_cbranch_vccz .LBB2_4
; %bb.5:                                ;   in Loop: Header=BB2_3 Depth=2
	s_mov_b32 s0, 0
	s_and_b32 vcc_lo, exec_lo, s14
	s_mov_b64 s[10:11], s[4:5]
	s_cbranch_vccz .LBB2_3
; %bb.6:                                ;   in Loop: Header=BB2_2 Depth=1
	s_and_not1_b32 vcc_lo, exec_lo, s1
	s_mov_b64 s[8:9], s[4:5]
	s_cbranch_vccnz .LBB2_2
; %bb.7:
	v_mov_b32_e32 v0, 0
	v_dual_mov_b32 v1, 0 :: v_dual_mov_b32 v2, 0
.LBB2_8:                                ; =>This Inner Loop Header: Depth=1
	s_add_i32 s1, s0, 0
	scratch_load_b128 v[3:6], off, s1
	v_readfirstlane_b32 s1, v2
	s_delay_alu instid0(VALU_DEP_1)
	s_add_i32 s1, s1, s0
	s_addk_i32 s0, 0xc0
	s_add_i32 s2, s1, 0x60
	scratch_load_b128 v[7:10], off, s2
	s_add_i32 s2, s1, 16
	scratch_load_b128 v[11:14], off, s2
	;; [unrolled: 2-line block ×9, first 2 shown]
	s_add_i32 s2, s1, 0x50
	s_addk_i32 s1, 0xb0
	s_cmpk_lg_i32 s0, 0x480
	s_waitcnt vmcnt(9)
	v_add_f64 v[3:4], v[3:4], 0
	s_waitcnt vmcnt(8)
	v_add_f64 v[7:8], v[7:8], 0
	s_delay_alu instid0(VALU_DEP_2)
	v_add_f64 v[43:44], v[3:4], v[5:6]
	scratch_load_b128 v[3:6], off, s2
	v_add_f64 v[45:46], v[7:8], v[9:10]
	scratch_load_b128 v[7:10], off, s1
	s_waitcnt vmcnt(9)
	v_add_f64 v[11:12], v[43:44], v[11:12]
	s_waitcnt vmcnt(8)
	v_add_f64 v[15:16], v[45:46], v[15:16]
	s_delay_alu instid0(VALU_DEP_2) | instskip(NEXT) | instid1(VALU_DEP_2)
	v_add_f64 v[11:12], v[11:12], v[13:14]
	v_add_f64 v[13:14], v[15:16], v[17:18]
	s_waitcnt vmcnt(7)
	s_delay_alu instid0(VALU_DEP_2) | instskip(SKIP_1) | instid1(VALU_DEP_2)
	v_add_f64 v[11:12], v[11:12], v[19:20]
	s_waitcnt vmcnt(6)
	v_add_f64 v[13:14], v[13:14], v[23:24]
	s_delay_alu instid0(VALU_DEP_2) | instskip(NEXT) | instid1(VALU_DEP_2)
	v_add_f64 v[11:12], v[11:12], v[21:22]
	v_add_f64 v[13:14], v[13:14], v[25:26]
	s_waitcnt vmcnt(5)
	s_delay_alu instid0(VALU_DEP_2) | instskip(SKIP_1) | instid1(VALU_DEP_2)
	;; [unrolled: 8-line block ×4, first 2 shown]
	v_add_f64 v[3:4], v[11:12], v[3:4]
	s_waitcnt vmcnt(0)
	v_add_f64 v[7:8], v[13:14], v[7:8]
	s_delay_alu instid0(VALU_DEP_2) | instskip(NEXT) | instid1(VALU_DEP_2)
	v_add_f64 v[3:4], v[3:4], v[5:6]
	v_add_f64 v[5:6], v[7:8], v[9:10]
	s_delay_alu instid0(VALU_DEP_2) | instskip(NEXT) | instid1(VALU_DEP_1)
	v_add_f64 v[0:1], v[0:1], v[3:4]
	v_add_f64 v[0:1], v[0:1], v[5:6]
	s_cbranch_scc1 .LBB2_8
; %bb.9:
	scratch_load_b64 v[2:3], off, off offset:1176 ; 8-byte Folded Reload
	s_waitcnt vmcnt(0)
	v_add_co_u32 v2, vcc_lo, s20, v2
	v_add_co_ci_u32_e32 v3, vcc_lo, s21, v3, vcc_lo
	global_store_b64 v[2:3], v[0:1], off
.LBB2_10:
	s_endpgm
	.section	.rodata,"a",@progbits
	.p2align	6, 0x0
	.amdhsa_kernel _ZN4RAJA6policy3hip4impl18forallp_hip_kernelINS1_8hip_execINS_17iteration_mapping6DirectENS_3hip11IndexGlobalILNS_9named_dimE0ELi256ELi0EEENS7_40AvoidDeviceMaxThreadOccupancyConcretizerINS7_34FractionOffsetOccupancyConcretizerINS_8FractionImLm1ELm1EEELln1EEEEELb1EEENS_9Iterators16numeric_iteratorIllPlEEZN8rajaperf4apps6EDGE3D17runHipVariantImplILm256EEEvNSM_9VariantIDEEUllE0_lNS_4expt15ForallParamPackIJEEES6_SA_TnNSt9enable_ifIXaasr3std10is_base_ofINS5_10DirectBaseET4_EE5valuegtsrT5_10block_sizeLi0EEmE4typeELm256EEEvT1_T0_T2_T3_
		.amdhsa_group_segment_fixed_size 0
		.amdhsa_private_segment_fixed_size 1200
		.amdhsa_kernarg_size 220
		.amdhsa_user_sgpr_count 15
		.amdhsa_user_sgpr_dispatch_ptr 0
		.amdhsa_user_sgpr_queue_ptr 0
		.amdhsa_user_sgpr_kernarg_segment_ptr 1
		.amdhsa_user_sgpr_dispatch_id 0
		.amdhsa_user_sgpr_private_segment_size 0
		.amdhsa_wavefront_size32 1
		.amdhsa_uses_dynamic_stack 0
		.amdhsa_enable_private_segment 1
		.amdhsa_system_sgpr_workgroup_id_x 1
		.amdhsa_system_sgpr_workgroup_id_y 0
		.amdhsa_system_sgpr_workgroup_id_z 0
		.amdhsa_system_sgpr_workgroup_info 0
		.amdhsa_system_vgpr_workitem_id 0
		.amdhsa_next_free_vgpr 256
		.amdhsa_next_free_sgpr 68
		.amdhsa_reserve_vcc 1
		.amdhsa_float_round_mode_32 0
		.amdhsa_float_round_mode_16_64 0
		.amdhsa_float_denorm_mode_32 3
		.amdhsa_float_denorm_mode_16_64 3
		.amdhsa_dx10_clamp 1
		.amdhsa_ieee_mode 1
		.amdhsa_fp16_overflow 0
		.amdhsa_workgroup_processor_mode 1
		.amdhsa_memory_ordered 1
		.amdhsa_forward_progress 0
		.amdhsa_shared_vgpr_count 0
		.amdhsa_exception_fp_ieee_invalid_op 0
		.amdhsa_exception_fp_denorm_src 0
		.amdhsa_exception_fp_ieee_div_zero 0
		.amdhsa_exception_fp_ieee_overflow 0
		.amdhsa_exception_fp_ieee_underflow 0
		.amdhsa_exception_fp_ieee_inexact 0
		.amdhsa_exception_int_div_zero 0
	.end_amdhsa_kernel
	.section	.text._ZN4RAJA6policy3hip4impl18forallp_hip_kernelINS1_8hip_execINS_17iteration_mapping6DirectENS_3hip11IndexGlobalILNS_9named_dimE0ELi256ELi0EEENS7_40AvoidDeviceMaxThreadOccupancyConcretizerINS7_34FractionOffsetOccupancyConcretizerINS_8FractionImLm1ELm1EEELln1EEEEELb1EEENS_9Iterators16numeric_iteratorIllPlEEZN8rajaperf4apps6EDGE3D17runHipVariantImplILm256EEEvNSM_9VariantIDEEUllE0_lNS_4expt15ForallParamPackIJEEES6_SA_TnNSt9enable_ifIXaasr3std10is_base_ofINS5_10DirectBaseET4_EE5valuegtsrT5_10block_sizeLi0EEmE4typeELm256EEEvT1_T0_T2_T3_,"axG",@progbits,_ZN4RAJA6policy3hip4impl18forallp_hip_kernelINS1_8hip_execINS_17iteration_mapping6DirectENS_3hip11IndexGlobalILNS_9named_dimE0ELi256ELi0EEENS7_40AvoidDeviceMaxThreadOccupancyConcretizerINS7_34FractionOffsetOccupancyConcretizerINS_8FractionImLm1ELm1EEELln1EEEEELb1EEENS_9Iterators16numeric_iteratorIllPlEEZN8rajaperf4apps6EDGE3D17runHipVariantImplILm256EEEvNSM_9VariantIDEEUllE0_lNS_4expt15ForallParamPackIJEEES6_SA_TnNSt9enable_ifIXaasr3std10is_base_ofINS5_10DirectBaseET4_EE5valuegtsrT5_10block_sizeLi0EEmE4typeELm256EEEvT1_T0_T2_T3_,comdat
.Lfunc_end2:
	.size	_ZN4RAJA6policy3hip4impl18forallp_hip_kernelINS1_8hip_execINS_17iteration_mapping6DirectENS_3hip11IndexGlobalILNS_9named_dimE0ELi256ELi0EEENS7_40AvoidDeviceMaxThreadOccupancyConcretizerINS7_34FractionOffsetOccupancyConcretizerINS_8FractionImLm1ELm1EEELln1EEEEELb1EEENS_9Iterators16numeric_iteratorIllPlEEZN8rajaperf4apps6EDGE3D17runHipVariantImplILm256EEEvNSM_9VariantIDEEUllE0_lNS_4expt15ForallParamPackIJEEES6_SA_TnNSt9enable_ifIXaasr3std10is_base_ofINS5_10DirectBaseET4_EE5valuegtsrT5_10block_sizeLi0EEmE4typeELm256EEEvT1_T0_T2_T3_, .Lfunc_end2-_ZN4RAJA6policy3hip4impl18forallp_hip_kernelINS1_8hip_execINS_17iteration_mapping6DirectENS_3hip11IndexGlobalILNS_9named_dimE0ELi256ELi0EEENS7_40AvoidDeviceMaxThreadOccupancyConcretizerINS7_34FractionOffsetOccupancyConcretizerINS_8FractionImLm1ELm1EEELln1EEEEELb1EEENS_9Iterators16numeric_iteratorIllPlEEZN8rajaperf4apps6EDGE3D17runHipVariantImplILm256EEEvNSM_9VariantIDEEUllE0_lNS_4expt15ForallParamPackIJEEES6_SA_TnNSt9enable_ifIXaasr3std10is_base_ofINS5_10DirectBaseET4_EE5valuegtsrT5_10block_sizeLi0EEmE4typeELm256EEEvT1_T0_T2_T3_
                                        ; -- End function
	.section	.AMDGPU.csdata,"",@progbits
; Kernel info:
; codeLenInByte = 13700
; NumSgprs: 70
; NumVgprs: 256
; ScratchSize: 1200
; MemoryBound: 0
; FloatMode: 240
; IeeeMode: 1
; LDSByteSize: 0 bytes/workgroup (compile time only)
; SGPRBlocks: 8
; VGPRBlocks: 31
; NumSGPRsForWavesPerEU: 70
; NumVGPRsForWavesPerEU: 256
; Occupancy: 5
; WaveLimiterHint : 1
; COMPUTE_PGM_RSRC2:SCRATCH_EN: 1
; COMPUTE_PGM_RSRC2:USER_SGPR: 15
; COMPUTE_PGM_RSRC2:TRAP_HANDLER: 0
; COMPUTE_PGM_RSRC2:TGID_X_EN: 1
; COMPUTE_PGM_RSRC2:TGID_Y_EN: 0
; COMPUTE_PGM_RSRC2:TGID_Z_EN: 0
; COMPUTE_PGM_RSRC2:TIDIG_COMP_CNT: 0
	.text
	.p2alignl 7, 3214868480
	.fill 96, 4, 3214868480
	.type	__hip_cuid_7f21f472eabc9ade,@object ; @__hip_cuid_7f21f472eabc9ade
	.section	.bss,"aw",@nobits
	.globl	__hip_cuid_7f21f472eabc9ade
__hip_cuid_7f21f472eabc9ade:
	.byte	0                               ; 0x0
	.size	__hip_cuid_7f21f472eabc9ade, 1

	.ident	"AMD clang version 19.0.0git (https://github.com/RadeonOpenCompute/llvm-project roc-6.4.0 25133 c7fe45cf4b819c5991fe208aaa96edf142730f1d)"
	.section	".note.GNU-stack","",@progbits
	.addrsig
	.addrsig_sym __hip_cuid_7f21f472eabc9ade
	.amdgpu_metadata
---
amdhsa.kernels:
  - .args:
      - .address_space:  global
        .offset:         0
        .size:           8
        .value_kind:     global_buffer
      - .address_space:  global
        .offset:         8
        .size:           8
        .value_kind:     global_buffer
      - .address_space:  global
        .offset:         16
        .size:           8
        .value_kind:     global_buffer
      - .address_space:  global
        .offset:         24
        .size:           8
        .value_kind:     global_buffer
      - .address_space:  global
        .offset:         32
        .size:           8
        .value_kind:     global_buffer
      - .address_space:  global
        .offset:         40
        .size:           8
        .value_kind:     global_buffer
      - .address_space:  global
        .offset:         48
        .size:           8
        .value_kind:     global_buffer
      - .address_space:  global
        .offset:         56
        .size:           8
        .value_kind:     global_buffer
      - .address_space:  global
        .offset:         64
        .size:           8
        .value_kind:     global_buffer
      - .address_space:  global
        .offset:         72
        .size:           8
        .value_kind:     global_buffer
      - .address_space:  global
        .offset:         80
        .size:           8
        .value_kind:     global_buffer
      - .address_space:  global
        .offset:         88
        .size:           8
        .value_kind:     global_buffer
      - .address_space:  global
        .offset:         96
        .size:           8
        .value_kind:     global_buffer
      - .address_space:  global
        .offset:         104
        .size:           8
        .value_kind:     global_buffer
      - .address_space:  global
        .offset:         112
        .size:           8
        .value_kind:     global_buffer
      - .address_space:  global
        .offset:         120
        .size:           8
        .value_kind:     global_buffer
      - .address_space:  global
        .offset:         128
        .size:           8
        .value_kind:     global_buffer
      - .address_space:  global
        .offset:         136
        .size:           8
        .value_kind:     global_buffer
      - .address_space:  global
        .offset:         144
        .size:           8
        .value_kind:     global_buffer
      - .address_space:  global
        .offset:         152
        .size:           8
        .value_kind:     global_buffer
      - .address_space:  global
        .offset:         160
        .size:           8
        .value_kind:     global_buffer
      - .address_space:  global
        .offset:         168
        .size:           8
        .value_kind:     global_buffer
      - .address_space:  global
        .offset:         176
        .size:           8
        .value_kind:     global_buffer
      - .address_space:  global
        .offset:         184
        .size:           8
        .value_kind:     global_buffer
      - .address_space:  global
        .offset:         192
        .size:           8
        .value_kind:     global_buffer
      - .offset:         200
        .size:           8
        .value_kind:     by_value
      - .offset:         208
        .size:           8
        .value_kind:     by_value
    .group_segment_fixed_size: 0
    .kernarg_segment_align: 8
    .kernarg_segment_size: 216
    .language:       OpenCL C
    .language_version:
      - 2
      - 0
    .max_flat_workgroup_size: 256
    .name:           _ZN8rajaperf4apps6edge3dILm256EEEvPdS2_S2_S2_S2_S2_S2_S2_S2_S2_S2_S2_S2_S2_S2_S2_S2_S2_S2_S2_S2_S2_S2_S2_S2_ll
    .private_segment_fixed_size: 1200
    .sgpr_count:     70
    .sgpr_spill_count: 0
    .symbol:         _ZN8rajaperf4apps6edge3dILm256EEEvPdS2_S2_S2_S2_S2_S2_S2_S2_S2_S2_S2_S2_S2_S2_S2_S2_S2_S2_S2_S2_S2_S2_S2_S2_ll.kd
    .uniform_work_group_size: 1
    .uses_dynamic_stack: false
    .vgpr_count:     256
    .vgpr_spill_count: 8
    .wavefront_size: 32
    .workgroup_processor_mode: 1
  - .args:
      - .offset:         0
        .size:           8
        .value_kind:     by_value
      - .offset:         8
        .size:           8
        .value_kind:     by_value
      - .offset:         16
        .size:           200
        .value_kind:     by_value
    .group_segment_fixed_size: 0
    .kernarg_segment_align: 8
    .kernarg_segment_size: 216
    .language:       OpenCL C
    .language_version:
      - 2
      - 0
    .max_flat_workgroup_size: 256
    .name:           _ZN8rajaperf17lambda_hip_forallILm256EZNS_4apps6EDGE3D17runHipVariantImplILm256EEEvNS_9VariantIDEEUllE_EEvllT0_
    .private_segment_fixed_size: 1200
    .sgpr_count:     62
    .sgpr_spill_count: 0
    .symbol:         _ZN8rajaperf17lambda_hip_forallILm256EZNS_4apps6EDGE3D17runHipVariantImplILm256EEEvNS_9VariantIDEEUllE_EEvllT0_.kd
    .uniform_work_group_size: 1
    .uses_dynamic_stack: false
    .vgpr_count:     256
    .vgpr_spill_count: 8
    .wavefront_size: 32
    .workgroup_processor_mode: 1
  - .args:
      - .offset:         0
        .size:           200
        .value_kind:     by_value
      - .offset:         200
        .size:           8
        .value_kind:     by_value
      - .offset:         208
        .size:           8
        .value_kind:     by_value
      - .offset:         216
        .size:           1
        .value_kind:     by_value
    .group_segment_fixed_size: 0
    .kernarg_segment_align: 8
    .kernarg_segment_size: 220
    .language:       OpenCL C
    .language_version:
      - 2
      - 0
    .max_flat_workgroup_size: 256
    .name:           _ZN4RAJA6policy3hip4impl18forallp_hip_kernelINS1_8hip_execINS_17iteration_mapping6DirectENS_3hip11IndexGlobalILNS_9named_dimE0ELi256ELi0EEENS7_40AvoidDeviceMaxThreadOccupancyConcretizerINS7_34FractionOffsetOccupancyConcretizerINS_8FractionImLm1ELm1EEELln1EEEEELb1EEENS_9Iterators16numeric_iteratorIllPlEEZN8rajaperf4apps6EDGE3D17runHipVariantImplILm256EEEvNSM_9VariantIDEEUllE0_lNS_4expt15ForallParamPackIJEEES6_SA_TnNSt9enable_ifIXaasr3std10is_base_ofINS5_10DirectBaseET4_EE5valuegtsrT5_10block_sizeLi0EEmE4typeELm256EEEvT1_T0_T2_T3_
    .private_segment_fixed_size: 1200
    .sgpr_count:     70
    .sgpr_spill_count: 0
    .symbol:         _ZN4RAJA6policy3hip4impl18forallp_hip_kernelINS1_8hip_execINS_17iteration_mapping6DirectENS_3hip11IndexGlobalILNS_9named_dimE0ELi256ELi0EEENS7_40AvoidDeviceMaxThreadOccupancyConcretizerINS7_34FractionOffsetOccupancyConcretizerINS_8FractionImLm1ELm1EEELln1EEEEELb1EEENS_9Iterators16numeric_iteratorIllPlEEZN8rajaperf4apps6EDGE3D17runHipVariantImplILm256EEEvNSM_9VariantIDEEUllE0_lNS_4expt15ForallParamPackIJEEES6_SA_TnNSt9enable_ifIXaasr3std10is_base_ofINS5_10DirectBaseET4_EE5valuegtsrT5_10block_sizeLi0EEmE4typeELm256EEEvT1_T0_T2_T3_.kd
    .uniform_work_group_size: 1
    .uses_dynamic_stack: false
    .vgpr_count:     256
    .vgpr_spill_count: 8
    .wavefront_size: 32
    .workgroup_processor_mode: 1
amdhsa.target:   amdgcn-amd-amdhsa--gfx1100
amdhsa.version:
  - 1
  - 2
...

	.end_amdgpu_metadata
